;; amdgpu-corpus repo=ROCm/rocFFT kind=compiled arch=gfx1030 opt=O3
	.text
	.amdgcn_target "amdgcn-amd-amdhsa--gfx1030"
	.amdhsa_code_object_version 6
	.protected	fft_rtc_fwd_len1088_factors_17_4_4_2_2_wgs_204_tpt_68_halfLds_dp_op_CI_CI_unitstride_sbrr_C2R_dirReg ; -- Begin function fft_rtc_fwd_len1088_factors_17_4_4_2_2_wgs_204_tpt_68_halfLds_dp_op_CI_CI_unitstride_sbrr_C2R_dirReg
	.globl	fft_rtc_fwd_len1088_factors_17_4_4_2_2_wgs_204_tpt_68_halfLds_dp_op_CI_CI_unitstride_sbrr_C2R_dirReg
	.p2align	8
	.type	fft_rtc_fwd_len1088_factors_17_4_4_2_2_wgs_204_tpt_68_halfLds_dp_op_CI_CI_unitstride_sbrr_C2R_dirReg,@function
fft_rtc_fwd_len1088_factors_17_4_4_2_2_wgs_204_tpt_68_halfLds_dp_op_CI_CI_unitstride_sbrr_C2R_dirReg: ; @fft_rtc_fwd_len1088_factors_17_4_4_2_2_wgs_204_tpt_68_halfLds_dp_op_CI_CI_unitstride_sbrr_C2R_dirReg
; %bb.0:
	s_load_dwordx4 s[12:15], s[4:5], 0x0
	v_mul_u32_u24_e32 v1, 0x3c4, v0
	s_clause 0x1
	s_load_dwordx4 s[8:11], s[4:5], 0x58
	s_load_dwordx4 s[16:19], s[4:5], 0x18
	v_mov_b32_e32 v5, 0
	v_lshrrev_b32_e32 v3, 16, v1
	v_mov_b32_e32 v1, 0
	v_mov_b32_e32 v2, 0
	v_mad_u64_u32 v[3:4], null, s6, 3, v[3:4]
	v_mov_b32_e32 v4, v5
	v_mov_b32_e32 v69, v2
	;; [unrolled: 1-line block ×5, first 2 shown]
	s_waitcnt lgkmcnt(0)
	v_cmp_lt_u64_e64 s0, s[14:15], 2
	s_and_b32 vcc_lo, exec_lo, s0
	s_cbranch_vccnz .LBB0_8
; %bb.1:
	s_load_dwordx2 s[0:1], s[4:5], 0x10
	v_mov_b32_e32 v1, 0
	v_mov_b32_e32 v2, 0
	s_add_u32 s2, s18, 8
	v_mov_b32_e32 v8, v4
	s_addc_u32 s3, s19, 0
	v_mov_b32_e32 v7, v3
	v_mov_b32_e32 v69, v2
	s_add_u32 s6, s16, 8
	v_mov_b32_e32 v68, v1
	s_addc_u32 s7, s17, 0
	s_mov_b64 s[22:23], 1
	s_waitcnt lgkmcnt(0)
	s_add_u32 s20, s0, 8
	s_addc_u32 s21, s1, 0
.LBB0_2:                                ; =>This Inner Loop Header: Depth=1
	s_load_dwordx2 s[24:25], s[20:21], 0x0
                                        ; implicit-def: $vgpr72_vgpr73
	s_mov_b32 s0, exec_lo
	s_waitcnt lgkmcnt(0)
	v_or_b32_e32 v6, s25, v8
	v_cmpx_ne_u64_e32 0, v[5:6]
	s_xor_b32 s1, exec_lo, s0
	s_cbranch_execz .LBB0_4
; %bb.3:                                ;   in Loop: Header=BB0_2 Depth=1
	v_cvt_f32_u32_e32 v4, s24
	v_cvt_f32_u32_e32 v6, s25
	s_sub_u32 s0, 0, s24
	s_subb_u32 s26, 0, s25
	v_fmac_f32_e32 v4, 0x4f800000, v6
	v_rcp_f32_e32 v4, v4
	v_mul_f32_e32 v4, 0x5f7ffffc, v4
	v_mul_f32_e32 v6, 0x2f800000, v4
	v_trunc_f32_e32 v6, v6
	v_fmac_f32_e32 v4, 0xcf800000, v6
	v_cvt_u32_f32_e32 v6, v6
	v_cvt_u32_f32_e32 v4, v4
	v_mul_lo_u32 v9, s0, v6
	v_mul_hi_u32 v10, s0, v4
	v_mul_lo_u32 v11, s26, v4
	v_add_nc_u32_e32 v9, v10, v9
	v_mul_lo_u32 v10, s0, v4
	v_add_nc_u32_e32 v9, v9, v11
	v_mul_hi_u32 v11, v4, v10
	v_mul_lo_u32 v12, v4, v9
	v_mul_hi_u32 v13, v4, v9
	v_mul_hi_u32 v14, v6, v10
	v_mul_lo_u32 v10, v6, v10
	v_mul_hi_u32 v15, v6, v9
	v_mul_lo_u32 v9, v6, v9
	v_add_co_u32 v11, vcc_lo, v11, v12
	v_add_co_ci_u32_e32 v12, vcc_lo, 0, v13, vcc_lo
	v_add_co_u32 v10, vcc_lo, v11, v10
	v_add_co_ci_u32_e32 v10, vcc_lo, v12, v14, vcc_lo
	v_add_co_ci_u32_e32 v11, vcc_lo, 0, v15, vcc_lo
	v_add_co_u32 v9, vcc_lo, v10, v9
	v_add_co_ci_u32_e32 v10, vcc_lo, 0, v11, vcc_lo
	v_add_co_u32 v4, vcc_lo, v4, v9
	v_add_co_ci_u32_e32 v6, vcc_lo, v6, v10, vcc_lo
	v_mul_hi_u32 v9, s0, v4
	v_mul_lo_u32 v11, s26, v4
	v_mul_lo_u32 v10, s0, v6
	v_add_nc_u32_e32 v9, v9, v10
	v_mul_lo_u32 v10, s0, v4
	v_add_nc_u32_e32 v9, v9, v11
	v_mul_hi_u32 v11, v4, v10
	v_mul_lo_u32 v12, v4, v9
	v_mul_hi_u32 v13, v4, v9
	v_mul_hi_u32 v14, v6, v10
	v_mul_lo_u32 v10, v6, v10
	v_mul_hi_u32 v15, v6, v9
	v_mul_lo_u32 v9, v6, v9
	v_add_co_u32 v11, vcc_lo, v11, v12
	v_add_co_ci_u32_e32 v12, vcc_lo, 0, v13, vcc_lo
	v_add_co_u32 v10, vcc_lo, v11, v10
	v_add_co_ci_u32_e32 v10, vcc_lo, v12, v14, vcc_lo
	v_add_co_ci_u32_e32 v11, vcc_lo, 0, v15, vcc_lo
	v_add_co_u32 v9, vcc_lo, v10, v9
	v_add_co_ci_u32_e32 v10, vcc_lo, 0, v11, vcc_lo
	v_add_co_u32 v4, vcc_lo, v4, v9
	v_add_co_ci_u32_e32 v6, vcc_lo, v6, v10, vcc_lo
	v_mul_hi_u32 v15, v7, v4
	v_mad_u64_u32 v[11:12], null, v8, v4, 0
	v_mad_u64_u32 v[9:10], null, v7, v6, 0
	;; [unrolled: 1-line block ×3, first 2 shown]
	v_add_co_u32 v4, vcc_lo, v15, v9
	v_add_co_ci_u32_e32 v6, vcc_lo, 0, v10, vcc_lo
	v_add_co_u32 v4, vcc_lo, v4, v11
	v_add_co_ci_u32_e32 v4, vcc_lo, v6, v12, vcc_lo
	v_add_co_ci_u32_e32 v6, vcc_lo, 0, v14, vcc_lo
	v_add_co_u32 v4, vcc_lo, v4, v13
	v_add_co_ci_u32_e32 v6, vcc_lo, 0, v6, vcc_lo
	v_mul_lo_u32 v11, s25, v4
	v_mad_u64_u32 v[9:10], null, s24, v4, 0
	v_mul_lo_u32 v12, s24, v6
	v_sub_co_u32 v9, vcc_lo, v7, v9
	v_add3_u32 v10, v10, v12, v11
	v_sub_nc_u32_e32 v11, v8, v10
	v_subrev_co_ci_u32_e64 v11, s0, s25, v11, vcc_lo
	v_add_co_u32 v12, s0, v4, 2
	v_add_co_ci_u32_e64 v13, s0, 0, v6, s0
	v_sub_co_u32 v14, s0, v9, s24
	v_sub_co_ci_u32_e32 v10, vcc_lo, v8, v10, vcc_lo
	v_subrev_co_ci_u32_e64 v11, s0, 0, v11, s0
	v_cmp_le_u32_e32 vcc_lo, s24, v14
	v_cmp_eq_u32_e64 s0, s25, v10
	v_cndmask_b32_e64 v14, 0, -1, vcc_lo
	v_cmp_le_u32_e32 vcc_lo, s25, v11
	v_cndmask_b32_e64 v15, 0, -1, vcc_lo
	v_cmp_le_u32_e32 vcc_lo, s24, v9
	;; [unrolled: 2-line block ×3, first 2 shown]
	v_cndmask_b32_e64 v16, 0, -1, vcc_lo
	v_cmp_eq_u32_e32 vcc_lo, s25, v11
	v_cndmask_b32_e64 v9, v16, v9, s0
	v_cndmask_b32_e32 v11, v15, v14, vcc_lo
	v_add_co_u32 v14, vcc_lo, v4, 1
	v_add_co_ci_u32_e32 v15, vcc_lo, 0, v6, vcc_lo
	v_cmp_ne_u32_e32 vcc_lo, 0, v11
	v_cndmask_b32_e32 v10, v15, v13, vcc_lo
	v_cndmask_b32_e32 v11, v14, v12, vcc_lo
	v_cmp_ne_u32_e32 vcc_lo, 0, v9
	v_cndmask_b32_e32 v73, v6, v10, vcc_lo
	v_cndmask_b32_e32 v72, v4, v11, vcc_lo
.LBB0_4:                                ;   in Loop: Header=BB0_2 Depth=1
	s_andn2_saveexec_b32 s0, s1
	s_cbranch_execz .LBB0_6
; %bb.5:                                ;   in Loop: Header=BB0_2 Depth=1
	v_cvt_f32_u32_e32 v4, s24
	s_sub_i32 s1, 0, s24
	v_mov_b32_e32 v73, v5
	v_rcp_iflag_f32_e32 v4, v4
	v_mul_f32_e32 v4, 0x4f7ffffe, v4
	v_cvt_u32_f32_e32 v4, v4
	v_mul_lo_u32 v6, s1, v4
	v_mul_hi_u32 v6, v4, v6
	v_add_nc_u32_e32 v4, v4, v6
	v_mul_hi_u32 v4, v7, v4
	v_mul_lo_u32 v6, v4, s24
	v_add_nc_u32_e32 v9, 1, v4
	v_sub_nc_u32_e32 v6, v7, v6
	v_subrev_nc_u32_e32 v10, s24, v6
	v_cmp_le_u32_e32 vcc_lo, s24, v6
	v_cndmask_b32_e32 v6, v6, v10, vcc_lo
	v_cndmask_b32_e32 v4, v4, v9, vcc_lo
	v_cmp_le_u32_e32 vcc_lo, s24, v6
	v_add_nc_u32_e32 v9, 1, v4
	v_cndmask_b32_e32 v72, v4, v9, vcc_lo
.LBB0_6:                                ;   in Loop: Header=BB0_2 Depth=1
	s_or_b32 exec_lo, exec_lo, s0
	v_mul_lo_u32 v4, v73, s24
	v_mul_lo_u32 v6, v72, s25
	s_load_dwordx2 s[0:1], s[6:7], 0x0
	v_mad_u64_u32 v[9:10], null, v72, s24, 0
	s_load_dwordx2 s[24:25], s[2:3], 0x0
	s_add_u32 s22, s22, 1
	s_addc_u32 s23, s23, 0
	s_add_u32 s2, s2, 8
	s_addc_u32 s3, s3, 0
	s_add_u32 s6, s6, 8
	v_add3_u32 v4, v10, v6, v4
	v_sub_co_u32 v6, vcc_lo, v7, v9
	s_addc_u32 s7, s7, 0
	s_add_u32 s20, s20, 8
	v_sub_co_ci_u32_e32 v4, vcc_lo, v8, v4, vcc_lo
	s_addc_u32 s21, s21, 0
	s_waitcnt lgkmcnt(0)
	v_mul_lo_u32 v7, s0, v4
	v_mul_lo_u32 v8, s1, v6
	v_mad_u64_u32 v[1:2], null, s0, v6, v[1:2]
	v_mul_lo_u32 v4, s24, v4
	v_mul_lo_u32 v9, s25, v6
	v_mad_u64_u32 v[68:69], null, s24, v6, v[68:69]
	v_cmp_ge_u64_e64 s0, s[22:23], s[14:15]
	v_add3_u32 v2, v8, v2, v7
	v_add3_u32 v69, v9, v69, v4
	s_and_b32 vcc_lo, exec_lo, s0
	s_cbranch_vccnz .LBB0_8
; %bb.7:                                ;   in Loop: Header=BB0_2 Depth=1
	v_mov_b32_e32 v7, v72
	v_mov_b32_e32 v8, v73
	s_branch .LBB0_2
.LBB0_8:
	s_load_dwordx2 s[0:1], s[4:5], 0x28
	v_mul_hi_u32 v4, 0xaaaaaaab, v3
	v_mul_hi_u32 v7, 0x3c3c3c4, v0
	s_lshl_b64 s[4:5], s[14:15], 3
                                        ; implicit-def: $vgpr70
	s_add_u32 s2, s18, s4
	s_addc_u32 s3, s19, s5
	v_lshrrev_b32_e32 v4, 1, v4
	v_lshl_add_u32 v4, v4, 1, v4
	v_sub_nc_u32_e32 v3, v3, v4
	s_waitcnt lgkmcnt(0)
	v_cmp_gt_u64_e32 vcc_lo, s[0:1], v[72:73]
	v_cmp_le_u64_e64 s0, s[0:1], v[72:73]
                                        ; implicit-def: $vgpr4_vgpr5
	s_and_saveexec_b32 s1, s0
	s_xor_b32 s0, exec_lo, s1
; %bb.9:
	v_mul_u32_u24_e32 v1, 0x44, v7
	v_mov_b32_e32 v71, 0
                                        ; implicit-def: $vgpr7
	v_sub_nc_u32_e32 v70, v0, v1
                                        ; implicit-def: $vgpr0
                                        ; implicit-def: $vgpr1_vgpr2
	v_mov_b32_e32 v4, v70
	v_mov_b32_e32 v5, v71
; %bb.10:
	s_or_saveexec_b32 s1, s0
	s_load_dwordx2 s[2:3], s[2:3], 0x0
	v_mul_u32_u24_e32 v6, 0x441, v3
	v_lshlrev_b32_e32 v140, 4, v6
	s_xor_b32 exec_lo, exec_lo, s1
	s_cbranch_execz .LBB0_14
; %bb.11:
	s_add_u32 s4, s16, s4
	s_addc_u32 s5, s17, s5
	v_lshlrev_b64 v[1:2], 4, v[1:2]
	s_load_dwordx2 s[4:5], s[4:5], 0x0
	v_mov_b32_e32 v71, 0
	s_waitcnt lgkmcnt(0)
	v_mul_lo_u32 v5, s5, v72
	v_mul_lo_u32 v8, s4, v73
	v_mad_u64_u32 v[3:4], null, s4, v72, 0
	s_mov_b32 s4, exec_lo
	v_add3_u32 v4, v4, v8, v5
	v_mul_u32_u24_e32 v5, 0x44, v7
	v_lshlrev_b64 v[3:4], 4, v[3:4]
	v_sub_nc_u32_e32 v70, v0, v5
	v_lshlrev_b32_e32 v67, 4, v70
	v_add_co_u32 v0, s0, s8, v3
	v_add_co_ci_u32_e64 v3, s0, s9, v4, s0
	v_add_co_u32 v0, s0, v0, v1
	v_add_co_ci_u32_e64 v1, s0, v3, v2, s0
	;; [unrolled: 2-line block ×3, first 2 shown]
	s_clause 0x1
	global_load_dwordx4 v[7:10], v[2:3], off
	global_load_dwordx4 v[11:14], v[2:3], off offset:1088
	v_add_co_u32 v4, s0, 0x800, v2
	v_add_co_ci_u32_e64 v5, s0, 0, v3, s0
	v_add_co_u32 v27, s0, 0x1000, v2
	v_add_co_ci_u32_e64 v28, s0, 0, v3, s0
	;; [unrolled: 2-line block ×7, first 2 shown]
	s_clause 0xd
	global_load_dwordx4 v[15:18], v[4:5], off offset:128
	global_load_dwordx4 v[19:22], v[4:5], off offset:1216
	;; [unrolled: 1-line block ×14, first 2 shown]
	v_mov_b32_e32 v4, v70
	v_add3_u32 v2, 0, v140, v67
	v_mov_b32_e32 v5, v71
	s_waitcnt vmcnt(15)
	ds_write_b128 v2, v[7:10]
	s_waitcnt vmcnt(14)
	ds_write_b128 v2, v[11:14] offset:1088
	s_waitcnt vmcnt(13)
	ds_write_b128 v2, v[15:18] offset:2176
	;; [unrolled: 2-line block ×15, first 2 shown]
	v_cmpx_eq_u32_e32 0x43, v70
	s_cbranch_execz .LBB0_13
; %bb.12:
	v_add_co_u32 v0, s0, 0x4000, v0
	v_add_co_ci_u32_e64 v1, s0, 0, v1, s0
	v_mov_b32_e32 v4, 0x43
	v_mov_b32_e32 v5, 0
	;; [unrolled: 1-line block ×3, first 2 shown]
	global_load_dwordx4 v[7:10], v[0:1], off offset:1024
	s_waitcnt vmcnt(0)
	ds_write_b128 v2, v[7:10] offset:16336
.LBB0_13:
	s_or_b32 exec_lo, exec_lo, s4
.LBB0_14:
	s_or_b32 exec_lo, exec_lo, s1
	v_lshl_add_u32 v138, v6, 4, 0
	v_lshlrev_b32_e32 v0, 4, v70
	s_waitcnt lgkmcnt(0)
	s_barrier
	buffer_gl0_inv
	v_lshlrev_b64 v[74:75], 4, v[4:5]
	v_add_nc_u32_e32 v139, v138, v0
	v_sub_nc_u32_e32 v7, v138, v0
	s_add_u32 s1, s12, 0x42f0
	s_addc_u32 s4, s13, 0
	ds_read_b64 v[2:3], v139
	ds_read_b64 v[8:9], v7 offset:17408
	s_mov_b32 s5, exec_lo
	s_waitcnt lgkmcnt(0)
	v_add_f64 v[0:1], v[2:3], v[8:9]
	v_add_f64 v[2:3], v[2:3], -v[8:9]
	v_cmpx_ne_u32_e32 0, v70
	s_xor_b32 s5, exec_lo, s5
	s_cbranch_execz .LBB0_16
; %bb.15:
	v_add_co_u32 v4, s0, s1, v74
	v_add_co_ci_u32_e64 v5, s0, s4, v75, s0
	global_load_dwordx4 v[8:11], v[4:5], off
	ds_read_b64 v[4:5], v7 offset:17416
	ds_read_b64 v[12:13], v139 offset:8
	s_waitcnt lgkmcnt(0)
	v_add_f64 v[14:15], v[4:5], v[12:13]
	v_add_f64 v[4:5], v[12:13], -v[4:5]
	s_waitcnt vmcnt(0)
	v_fma_f64 v[12:13], v[2:3], v[10:11], v[0:1]
	v_fma_f64 v[16:17], v[14:15], v[10:11], v[4:5]
	v_fma_f64 v[0:1], -v[2:3], v[10:11], v[0:1]
	v_fma_f64 v[4:5], v[14:15], v[10:11], -v[4:5]
	v_fma_f64 v[10:11], -v[14:15], v[8:9], v[12:13]
	v_fma_f64 v[12:13], v[2:3], v[8:9], v[16:17]
	v_fma_f64 v[0:1], v[14:15], v[8:9], v[0:1]
	;; [unrolled: 1-line block ×3, first 2 shown]
	ds_write_b128 v139, v[10:13]
	ds_write_b128 v7, v[0:3] offset:17408
                                        ; implicit-def: $vgpr0_vgpr1
.LBB0_16:
	s_andn2_saveexec_b32 s0, s5
	s_cbranch_execz .LBB0_18
; %bb.17:
	ds_write_b128 v139, v[0:3]
	ds_read_b128 v[0:3], v138 offset:8704
	s_waitcnt lgkmcnt(0)
	v_add_f64 v[0:1], v[0:1], v[0:1]
	v_mul_f64 v[2:3], v[2:3], -2.0
	ds_write_b128 v138, v[0:3] offset:8704
.LBB0_18:
	s_or_b32 exec_lo, exec_lo, s0
	v_mov_b32_e32 v71, 0
	v_lshl_add_u32 v141, v70, 4, 0
	s_mov_b32 s33, exec_lo
	v_lshlrev_b64 v[76:77], 4, v[70:71]
	v_lshl_add_u32 v71, v6, 4, v141
	v_add_co_u32 v28, s0, s1, v76
	v_add_co_ci_u32_e64 v29, s0, s4, v77, s0
	v_add_co_u32 v4, s0, 0x800, v28
	global_load_dwordx4 v[0:3], v[28:29], off offset:1088
	v_add_co_ci_u32_e64 v5, s0, 0, v29, s0
	v_add_co_u32 v30, s0, 0x1000, v28
	s_clause 0x1
	global_load_dwordx4 v[8:11], v[4:5], off offset:128
	global_load_dwordx4 v[12:15], v[4:5], off offset:1216
	v_add_co_ci_u32_e64 v31, s0, 0, v29, s0
	ds_read_b128 v[16:19], v139 offset:1088
	ds_read_b128 v[20:23], v7 offset:16320
	global_load_dwordx4 v[24:27], v[30:31], off offset:256
	s_waitcnt lgkmcnt(0)
	v_add_f64 v[4:5], v[16:17], v[20:21]
	v_add_f64 v[32:33], v[22:23], v[18:19]
	v_add_f64 v[20:21], v[16:17], -v[20:21]
	v_add_f64 v[16:17], v[18:19], -v[22:23]
	s_waitcnt vmcnt(3)
	v_fma_f64 v[18:19], v[20:21], v[2:3], v[4:5]
	v_fma_f64 v[22:23], v[32:33], v[2:3], v[16:17]
	v_fma_f64 v[34:35], -v[20:21], v[2:3], v[4:5]
	v_fma_f64 v[36:37], v[32:33], v[2:3], -v[16:17]
	v_fma_f64 v[2:3], -v[32:33], v[0:1], v[18:19]
	v_fma_f64 v[4:5], v[20:21], v[0:1], v[22:23]
	v_fma_f64 v[16:17], v[32:33], v[0:1], v[34:35]
	;; [unrolled: 1-line block ×3, first 2 shown]
	ds_write_b128 v139, v[2:5] offset:1088
	ds_write_b128 v7, v[16:19] offset:16320
	ds_read_b128 v[0:3], v139 offset:2176
	ds_read_b128 v[16:19], v7 offset:15232
	global_load_dwordx4 v[20:23], v[30:31], off offset:1344
	s_waitcnt lgkmcnt(0)
	v_add_f64 v[4:5], v[0:1], v[16:17]
	v_add_f64 v[30:31], v[18:19], v[2:3]
	v_add_f64 v[32:33], v[0:1], -v[16:17]
	v_add_f64 v[0:1], v[2:3], -v[18:19]
	s_waitcnt vmcnt(3)
	v_fma_f64 v[2:3], v[32:33], v[10:11], v[4:5]
	v_fma_f64 v[16:17], v[30:31], v[10:11], v[0:1]
	v_fma_f64 v[4:5], -v[32:33], v[10:11], v[4:5]
	v_fma_f64 v[10:11], v[30:31], v[10:11], -v[0:1]
	v_fma_f64 v[0:1], -v[30:31], v[8:9], v[2:3]
	v_fma_f64 v[2:3], v[32:33], v[8:9], v[16:17]
	v_fma_f64 v[16:17], v[30:31], v[8:9], v[4:5]
	;; [unrolled: 1-line block ×3, first 2 shown]
	v_add_co_u32 v4, s0, 0x1800, v28
	v_add_co_ci_u32_e64 v5, s0, 0, v29, s0
	ds_write_b128 v139, v[0:3] offset:2176
	ds_write_b128 v7, v[16:19] offset:15232
	ds_read_b128 v[0:3], v139 offset:3264
	ds_read_b128 v[8:11], v7 offset:14144
	global_load_dwordx4 v[16:19], v[4:5], off offset:384
	s_waitcnt lgkmcnt(0)
	v_add_f64 v[28:29], v[0:1], v[8:9]
	v_add_f64 v[30:31], v[10:11], v[2:3]
	v_add_f64 v[32:33], v[0:1], -v[8:9]
	v_add_f64 v[0:1], v[2:3], -v[10:11]
	s_waitcnt vmcnt(3)
	v_fma_f64 v[2:3], v[32:33], v[14:15], v[28:29]
	v_fma_f64 v[8:9], v[30:31], v[14:15], v[0:1]
	v_fma_f64 v[10:11], -v[32:33], v[14:15], v[28:29]
	v_fma_f64 v[14:15], v[30:31], v[14:15], -v[0:1]
	v_fma_f64 v[0:1], -v[30:31], v[12:13], v[2:3]
	v_fma_f64 v[2:3], v[32:33], v[12:13], v[8:9]
	v_fma_f64 v[8:9], v[30:31], v[12:13], v[10:11]
	;; [unrolled: 1-line block ×3, first 2 shown]
	ds_write_b128 v139, v[0:3] offset:3264
	ds_write_b128 v7, v[8:11] offset:14144
	ds_read_b128 v[0:3], v139 offset:4352
	ds_read_b128 v[8:11], v7 offset:13056
	global_load_dwordx4 v[12:15], v[4:5], off offset:1472
	s_waitcnt lgkmcnt(0)
	v_add_f64 v[4:5], v[0:1], v[8:9]
	v_add_f64 v[28:29], v[10:11], v[2:3]
	v_add_f64 v[30:31], v[0:1], -v[8:9]
	v_add_f64 v[0:1], v[2:3], -v[10:11]
	s_waitcnt vmcnt(3)
	v_fma_f64 v[2:3], v[30:31], v[26:27], v[4:5]
	v_fma_f64 v[8:9], v[28:29], v[26:27], v[0:1]
	v_fma_f64 v[4:5], -v[30:31], v[26:27], v[4:5]
	v_fma_f64 v[10:11], v[28:29], v[26:27], -v[0:1]
	v_fma_f64 v[0:1], -v[28:29], v[24:25], v[2:3]
	v_fma_f64 v[2:3], v[30:31], v[24:25], v[8:9]
	v_fma_f64 v[8:9], v[28:29], v[24:25], v[4:5]
	v_fma_f64 v[10:11], v[30:31], v[24:25], v[10:11]
	ds_write_b128 v139, v[0:3] offset:4352
	ds_write_b128 v7, v[8:11] offset:13056
	ds_read_b128 v[0:3], v139 offset:5440
	ds_read_b128 v[8:11], v7 offset:11968
	s_waitcnt lgkmcnt(0)
	v_add_f64 v[4:5], v[0:1], v[8:9]
	v_add_f64 v[24:25], v[10:11], v[2:3]
	v_add_f64 v[26:27], v[0:1], -v[8:9]
	v_add_f64 v[0:1], v[2:3], -v[10:11]
	s_waitcnt vmcnt(2)
	v_fma_f64 v[2:3], v[26:27], v[22:23], v[4:5]
	v_fma_f64 v[8:9], v[24:25], v[22:23], v[0:1]
	v_fma_f64 v[4:5], -v[26:27], v[22:23], v[4:5]
	v_fma_f64 v[10:11], v[24:25], v[22:23], -v[0:1]
	v_fma_f64 v[0:1], -v[24:25], v[20:21], v[2:3]
	v_fma_f64 v[2:3], v[26:27], v[20:21], v[8:9]
	v_fma_f64 v[8:9], v[24:25], v[20:21], v[4:5]
	v_fma_f64 v[10:11], v[26:27], v[20:21], v[10:11]
	ds_write_b128 v139, v[0:3] offset:5440
	ds_write_b128 v7, v[8:11] offset:11968
	ds_read_b128 v[0:3], v139 offset:6528
	ds_read_b128 v[8:11], v7 offset:10880
	;; [unrolled: 18-line block ×3, first 2 shown]
	s_waitcnt lgkmcnt(0)
	v_add_f64 v[4:5], v[0:1], v[8:9]
	v_add_f64 v[16:17], v[10:11], v[2:3]
	v_add_f64 v[18:19], v[0:1], -v[8:9]
	v_add_f64 v[0:1], v[2:3], -v[10:11]
	s_waitcnt vmcnt(0)
	v_fma_f64 v[2:3], v[18:19], v[14:15], v[4:5]
	v_fma_f64 v[8:9], v[16:17], v[14:15], v[0:1]
	v_fma_f64 v[4:5], -v[18:19], v[14:15], v[4:5]
	v_fma_f64 v[10:11], v[16:17], v[14:15], -v[0:1]
	v_fma_f64 v[0:1], -v[16:17], v[12:13], v[2:3]
	v_fma_f64 v[2:3], v[18:19], v[12:13], v[8:9]
	v_fma_f64 v[8:9], v[16:17], v[12:13], v[4:5]
	;; [unrolled: 1-line block ×3, first 2 shown]
	ds_write_b128 v139, v[0:3] offset:7616
	ds_write_b128 v7, v[8:11] offset:9792
	s_waitcnt lgkmcnt(0)
	s_barrier
	buffer_gl0_inv
	s_barrier
	buffer_gl0_inv
	ds_read_b128 v[0:3], v139
	ds_read_b128 v[4:7], v71 offset:1024
	ds_read_b128 v[16:19], v71 offset:2048
	;; [unrolled: 1-line block ×16, first 2 shown]
	s_waitcnt lgkmcnt(0)
	s_barrier
	buffer_gl0_inv
	v_cmpx_gt_u32_e32 64, v70
	s_cbranch_execz .LBB0_20
; %bb.19:
	v_add_f64 v[80:81], v[0:1], v[4:5]
	v_add_f64 v[78:79], v[2:3], v[6:7]
	;; [unrolled: 1-line block ×5, first 2 shown]
	v_add_f64 v[100:101], v[46:47], -v[50:51]
	v_add_f64 v[88:89], v[44:45], -v[48:49]
	v_add_f64 v[86:87], v[44:45], v[48:49]
	v_add_f64 v[114:115], v[38:39], v[42:43]
	v_add_f64 v[108:109], v[38:39], -v[42:43]
	v_add_f64 v[94:95], v[36:37], -v[40:41]
	v_add_f64 v[92:93], v[36:37], v[40:41]
	v_add_f64 v[122:123], v[30:31], v[34:35]
	v_add_f64 v[112:113], v[30:31], -v[34:35]
	v_add_f64 v[98:99], v[28:29], -v[32:33]
	v_add_f64 v[96:97], v[28:29], v[32:33]
	v_add_f64 v[106:107], v[24:25], -v[20:21]
	v_add_f64 v[102:103], v[24:25], v[20:21]
	v_add_f64 v[124:125], v[26:27], v[22:23]
	v_add_f64 v[116:117], v[26:27], -v[22:23]
	v_add_f64 v[118:119], v[16:17], -v[12:13]
	v_add_f64 v[120:121], v[16:17], v[12:13]
	v_add_f64 v[80:81], v[80:81], v[16:17]
	;; [unrolled: 1-line block ×4, first 2 shown]
	s_mov_b32 s0, 0x7faef3
	s_mov_b32 s1, 0xbfef7484
	v_add_f64 v[128:129], v[18:19], v[14:15]
	v_add_f64 v[126:127], v[18:19], -v[14:15]
	v_add_f64 v[132:133], v[4:5], -v[8:9]
	v_add_f64 v[130:131], v[4:5], v[8:9]
	s_mov_b32 s28, 0x370991
	s_mov_b32 s4, 0xacd6c6b4
	;; [unrolled: 1-line block ×4, first 2 shown]
	v_add_f64 v[136:137], v[6:7], -v[10:11]
	s_mov_b32 s34, 0x5d8e7cdc
	s_mov_b32 s35, 0xbfd71e95
	;; [unrolled: 1-line block ×8, first 2 shown]
	v_add_f64 v[80:81], v[80:81], v[24:25]
	v_add_f64 v[78:79], v[78:79], v[26:27]
	s_mov_b32 s8, 0x4363dd80
	s_mov_b32 s9, 0x3fe0d888
	;; [unrolled: 1-line block ×4, first 2 shown]
	v_mul_f64 v[18:19], v[126:127], s[44:45]
	s_mov_b32 s20, 0x75d4884
	s_mov_b32 s21, 0x3fe7a5f6
	;; [unrolled: 1-line block ×6, first 2 shown]
	v_mul_f64 v[16:17], v[136:137], s[14:15]
	s_mov_b32 s16, 0x6ed5f1bb
	s_mov_b32 s17, 0xbfe348c8
	;; [unrolled: 1-line block ×8, first 2 shown]
	v_add_f64 v[80:81], v[80:81], v[28:29]
	v_add_f64 v[78:79], v[78:79], v[30:31]
	s_mov_b32 s50, 0x7c9e640b
	s_mov_b32 s51, 0xbfeca52d
	;; [unrolled: 1-line block ×16, first 2 shown]
	v_mul_f64 v[144:145], v[90:91], s[16:17]
	v_mul_f64 v[152:153], v[90:91], s[20:21]
	v_mul_f64 v[160:161], v[90:91], s[6:7]
	v_mul_f64 v[168:169], v[90:91], s[28:29]
	v_add_f64 v[80:81], v[80:81], v[36:37]
	v_add_f64 v[78:79], v[78:79], v[38:39]
	;; [unrolled: 1-line block ×8, first 2 shown]
	v_add_f64 v[80:81], v[64:65], -v[60:61]
	v_add_f64 v[78:79], v[64:65], v[60:61]
	v_add_f64 v[64:65], v[66:67], -v[62:63]
	v_add_f64 v[66:67], v[54:55], -v[58:59]
	v_add_f64 v[60:61], v[84:85], v[60:61]
	v_add_f64 v[62:63], v[82:83], v[62:63]
	v_add_f64 v[84:85], v[52:53], -v[56:57]
	v_add_f64 v[82:83], v[52:53], v[56:57]
	v_mul_f64 v[146:147], v[64:65], s[42:43]
	v_mul_f64 v[154:155], v[64:65], s[24:25]
	;; [unrolled: 1-line block ×4, first 2 shown]
	v_add_f64 v[54:55], v[60:61], v[56:57]
	v_add_f64 v[52:53], v[62:63], v[58:59]
	v_mul_f64 v[58:59], v[90:91], s[26:27]
	v_mul_f64 v[60:61], v[64:65], s[38:39]
	v_add_f64 v[46:47], v[54:55], v[48:49]
	v_add_f64 v[44:45], v[52:53], v[50:51]
	v_mul_f64 v[50:51], v[90:91], s[30:31]
	v_mul_f64 v[52:53], v[64:65], s[52:53]
	v_add_f64 v[38:39], v[46:47], v[40:41]
	v_add_f64 v[36:37], v[44:45], v[42:43]
	v_mul_f64 v[42:43], v[90:91], s[46:47]
	v_mul_f64 v[44:45], v[64:65], s[48:49]
	v_mul_f64 v[90:91], v[90:91], s[0:1]
	v_add_f64 v[30:31], v[38:39], v[32:33]
	v_add_f64 v[28:29], v[36:37], v[34:35]
	;; [unrolled: 1-line block ×6, first 2 shown]
	v_fma_f64 v[20:21], v[120:121], s[28:29], v[18:19]
	v_add_f64 v[4:5], v[12:13], v[8:9]
	v_mul_f64 v[12:13], v[134:135], s[0:1]
	v_add_f64 v[6:7], v[14:15], v[10:11]
	v_mul_f64 v[14:15], v[128:129], s[28:29]
	v_fma_f64 v[8:9], v[132:133], s[4:5], v[12:13]
	v_fma_f64 v[12:13], v[132:133], s[14:15], v[12:13]
	;; [unrolled: 1-line block ×4, first 2 shown]
	v_add_f64 v[8:9], v[2:3], v[8:9]
	v_add_f64 v[12:13], v[2:3], v[12:13]
	;; [unrolled: 1-line block ×3, first 2 shown]
	v_fma_f64 v[10:11], v[130:131], s[0:1], v[16:17]
	v_add_f64 v[12:13], v[14:15], v[12:13]
	v_fma_f64 v[14:15], v[130:131], s[0:1], -v[16:17]
	v_fma_f64 v[16:17], v[120:121], s[28:29], -v[18:19]
	;; [unrolled: 1-line block ×3, first 2 shown]
	v_add_f64 v[10:11], v[0:1], v[10:11]
	v_add_f64 v[14:15], v[0:1], v[14:15]
	;; [unrolled: 1-line block ×3, first 2 shown]
	v_mul_f64 v[20:21], v[124:125], s[6:7]
	v_add_f64 v[14:15], v[16:17], v[14:15]
	v_fma_f64 v[22:23], v[106:107], s[8:9], v[20:21]
	v_fma_f64 v[16:17], v[106:107], s[22:23], v[20:21]
	v_mul_f64 v[20:21], v[134:135], s[6:7]
	v_add_f64 v[8:9], v[22:23], v[8:9]
	v_mul_f64 v[22:23], v[116:117], s[22:23]
	v_add_f64 v[12:13], v[16:17], v[12:13]
	v_fma_f64 v[24:25], v[102:103], s[6:7], v[22:23]
	v_fma_f64 v[16:17], v[102:103], s[6:7], -v[22:23]
	v_mul_f64 v[22:23], v[128:129], s[26:27]
	v_add_f64 v[10:11], v[24:25], v[10:11]
	v_mul_f64 v[24:25], v[122:123], s[20:21]
	v_add_f64 v[14:15], v[16:17], v[14:15]
	v_fma_f64 v[26:27], v[98:99], s[40:41], v[24:25]
	v_fma_f64 v[16:17], v[98:99], s[24:25], v[24:25]
	v_mul_f64 v[24:25], v[136:137], s[22:23]
	v_add_f64 v[8:9], v[26:27], v[8:9]
	v_mul_f64 v[26:27], v[112:113], s[24:25]
	v_add_f64 v[12:13], v[16:17], v[12:13]
	v_fma_f64 v[28:29], v[96:97], s[20:21], v[26:27]
	v_fma_f64 v[16:17], v[96:97], s[20:21], -v[26:27]
	v_mul_f64 v[26:27], v[126:127], s[38:39]
	v_add_f64 v[10:11], v[28:29], v[10:11]
	v_mul_f64 v[28:29], v[114:115], s[16:17]
	v_add_f64 v[14:15], v[16:17], v[14:15]
	v_fma_f64 v[30:31], v[94:95], s[18:19], v[28:29]
	v_fma_f64 v[16:17], v[94:95], s[42:43], v[28:29]
	;; [unrolled: 1-line block ×3, first 2 shown]
	v_add_f64 v[8:9], v[30:31], v[8:9]
	v_mul_f64 v[30:31], v[108:109], s[42:43]
	v_add_f64 v[12:13], v[16:17], v[12:13]
	v_fma_f64 v[32:33], v[92:93], s[16:17], v[30:31]
	v_fma_f64 v[16:17], v[92:93], s[16:17], -v[30:31]
	v_add_f64 v[10:11], v[32:33], v[10:11]
	v_mul_f64 v[32:33], v[110:111], s[26:27]
	v_add_f64 v[14:15], v[16:17], v[14:15]
	v_fma_f64 v[34:35], v[88:89], s[50:51], v[32:33]
	v_fma_f64 v[16:17], v[88:89], s[38:39], v[32:33]
	v_add_f64 v[8:9], v[34:35], v[8:9]
	v_mul_f64 v[34:35], v[100:101], s[38:39]
	v_add_f64 v[12:13], v[16:17], v[12:13]
	v_fma_f64 v[36:37], v[86:87], s[26:27], v[34:35]
	v_fma_f64 v[16:17], v[86:87], s[26:27], -v[34:35]
	v_add_f64 v[10:11], v[36:37], v[10:11]
	v_mul_f64 v[36:37], v[104:105], s[30:31]
	v_add_f64 v[14:15], v[16:17], v[14:15]
	v_fma_f64 v[38:39], v[84:85], s[36:37], v[36:37]
	v_fma_f64 v[16:17], v[84:85], s[52:53], v[36:37]
	v_add_f64 v[8:9], v[38:39], v[8:9]
	v_mul_f64 v[38:39], v[66:67], s[52:53]
	v_add_f64 v[12:13], v[16:17], v[12:13]
	v_fma_f64 v[16:17], v[82:83], s[30:31], -v[38:39]
	v_fma_f64 v[40:41], v[82:83], s[30:31], v[38:39]
	v_add_f64 v[16:17], v[16:17], v[14:15]
	v_fma_f64 v[14:15], v[80:81], s[48:49], v[42:43]
	v_add_f64 v[40:41], v[40:41], v[10:11]
	;; [unrolled: 2-line block ×3, first 2 shown]
	v_add_f64 v[12:13], v[18:19], v[16:17]
	v_fma_f64 v[16:17], v[132:133], s[8:9], v[20:21]
	v_fma_f64 v[18:19], v[118:119], s[50:51], v[22:23]
	;; [unrolled: 1-line block ×4, first 2 shown]
	v_add_f64 v[10:11], v[10:11], v[8:9]
	v_fma_f64 v[8:9], v[78:79], s[46:47], v[44:45]
	v_add_f64 v[16:17], v[2:3], v[16:17]
	v_add_f64 v[20:21], v[2:3], v[20:21]
	;; [unrolled: 1-line block ×4, first 2 shown]
	v_fma_f64 v[18:19], v[130:131], s[6:7], v[24:25]
	v_add_f64 v[20:21], v[22:23], v[20:21]
	v_fma_f64 v[22:23], v[130:131], s[6:7], -v[24:25]
	v_fma_f64 v[24:25], v[120:121], s[26:27], -v[26:27]
	;; [unrolled: 1-line block ×3, first 2 shown]
	v_add_f64 v[18:19], v[0:1], v[18:19]
	v_add_f64 v[22:23], v[0:1], v[22:23]
	;; [unrolled: 1-line block ×3, first 2 shown]
	v_mul_f64 v[28:29], v[124:125], s[46:47]
	v_add_f64 v[22:23], v[24:25], v[22:23]
	v_fma_f64 v[30:31], v[106:107], s[48:49], v[28:29]
	v_fma_f64 v[24:25], v[106:107], s[54:55], v[28:29]
	v_mul_f64 v[28:29], v[134:135], s[16:17]
	v_add_f64 v[16:17], v[30:31], v[16:17]
	v_mul_f64 v[30:31], v[116:117], s[54:55]
	v_add_f64 v[20:21], v[24:25], v[20:21]
	v_fma_f64 v[32:33], v[102:103], s[46:47], v[30:31]
	v_fma_f64 v[24:25], v[102:103], s[46:47], -v[30:31]
	v_mul_f64 v[30:31], v[128:129], s[30:31]
	v_add_f64 v[18:19], v[32:33], v[18:19]
	v_mul_f64 v[32:33], v[122:123], s[16:17]
	v_add_f64 v[22:23], v[24:25], v[22:23]
	v_fma_f64 v[34:35], v[98:99], s[42:43], v[32:33]
	v_fma_f64 v[24:25], v[98:99], s[18:19], v[32:33]
	v_mul_f64 v[32:33], v[136:137], s[42:43]
	v_add_f64 v[16:17], v[34:35], v[16:17]
	v_mul_f64 v[34:35], v[112:113], s[18:19]
	v_add_f64 v[20:21], v[24:25], v[20:21]
	v_fma_f64 v[36:37], v[96:97], s[16:17], v[34:35]
	v_fma_f64 v[24:25], v[96:97], s[16:17], -v[34:35]
	v_mul_f64 v[34:35], v[126:127], s[36:37]
	v_add_f64 v[18:19], v[36:37], v[18:19]
	v_mul_f64 v[36:37], v[114:115], s[28:29]
	v_add_f64 v[22:23], v[24:25], v[22:23]
	v_fma_f64 v[38:39], v[94:95], s[44:45], v[36:37]
	v_fma_f64 v[24:25], v[94:95], s[34:35], v[36:37]
	;; [unrolled: 1-line block ×3, first 2 shown]
	v_add_f64 v[16:17], v[38:39], v[16:17]
	v_mul_f64 v[38:39], v[108:109], s[34:35]
	v_add_f64 v[20:21], v[24:25], v[20:21]
	v_fma_f64 v[40:41], v[92:93], s[28:29], v[38:39]
	v_fma_f64 v[24:25], v[92:93], s[28:29], -v[38:39]
	v_add_f64 v[18:19], v[40:41], v[18:19]
	v_mul_f64 v[40:41], v[110:111], s[0:1]
	v_add_f64 v[22:23], v[24:25], v[22:23]
	v_fma_f64 v[42:43], v[88:89], s[4:5], v[40:41]
	v_fma_f64 v[24:25], v[88:89], s[14:15], v[40:41]
	v_add_f64 v[16:17], v[42:43], v[16:17]
	v_mul_f64 v[42:43], v[100:101], s[14:15]
	v_add_f64 v[20:21], v[24:25], v[20:21]
	v_fma_f64 v[44:45], v[86:87], s[0:1], v[42:43]
	v_fma_f64 v[24:25], v[86:87], s[0:1], -v[42:43]
	v_add_f64 v[18:19], v[44:45], v[18:19]
	v_mul_f64 v[44:45], v[104:105], s[20:21]
	v_add_f64 v[22:23], v[24:25], v[22:23]
	v_fma_f64 v[46:47], v[84:85], s[40:41], v[44:45]
	v_fma_f64 v[24:25], v[84:85], s[24:25], v[44:45]
	v_add_f64 v[16:17], v[46:47], v[16:17]
	v_mul_f64 v[46:47], v[66:67], s[24:25]
	v_add_f64 v[20:21], v[24:25], v[20:21]
	v_fma_f64 v[24:25], v[82:83], s[20:21], -v[46:47]
	v_fma_f64 v[48:49], v[82:83], s[20:21], v[46:47]
	v_add_f64 v[24:25], v[24:25], v[22:23]
	v_fma_f64 v[22:23], v[80:81], s[52:53], v[50:51]
	v_add_f64 v[48:49], v[48:49], v[18:19]
	;; [unrolled: 2-line block ×3, first 2 shown]
	v_add_f64 v[20:21], v[26:27], v[24:25]
	v_fma_f64 v[24:25], v[132:133], s[18:19], v[28:29]
	v_fma_f64 v[26:27], v[118:119], s[52:53], v[30:31]
	v_add_f64 v[18:19], v[18:19], v[16:17]
	v_fma_f64 v[16:17], v[78:79], s[30:31], v[52:53]
	v_fma_f64 v[28:29], v[132:133], s[42:43], v[28:29]
	;; [unrolled: 1-line block ×3, first 2 shown]
	v_add_f64 v[24:25], v[2:3], v[24:25]
	v_add_f64 v[16:17], v[16:17], v[48:49]
	;; [unrolled: 1-line block ×4, first 2 shown]
	v_fma_f64 v[26:27], v[130:131], s[16:17], v[32:33]
	v_add_f64 v[28:29], v[30:31], v[28:29]
	v_add_f64 v[26:27], v[0:1], v[26:27]
	;; [unrolled: 1-line block ×3, first 2 shown]
	v_mul_f64 v[36:37], v[124:125], s[28:29]
	v_fma_f64 v[38:39], v[106:107], s[44:45], v[36:37]
	v_fma_f64 v[30:31], v[106:107], s[34:35], v[36:37]
	v_mul_f64 v[36:37], v[134:135], s[30:31]
	v_add_f64 v[24:25], v[38:39], v[24:25]
	v_mul_f64 v[38:39], v[116:117], s[34:35]
	v_add_f64 v[28:29], v[30:31], v[28:29]
	v_fma_f64 v[40:41], v[102:103], s[28:29], v[38:39]
	v_add_f64 v[26:27], v[40:41], v[26:27]
	v_mul_f64 v[40:41], v[122:123], s[6:7]
	v_fma_f64 v[42:43], v[98:99], s[8:9], v[40:41]
	v_fma_f64 v[30:31], v[98:99], s[22:23], v[40:41]
	v_mul_f64 v[40:41], v[124:125], s[20:21]
	v_add_f64 v[24:25], v[42:43], v[24:25]
	v_mul_f64 v[42:43], v[112:113], s[22:23]
	v_add_f64 v[28:29], v[30:31], v[28:29]
	v_fma_f64 v[44:45], v[96:97], s[6:7], v[42:43]
	v_add_f64 v[26:27], v[44:45], v[26:27]
	;; [unrolled: 9-line block ×4, first 2 shown]
	v_mul_f64 v[52:53], v[104:105], s[0:1]
	v_fma_f64 v[30:31], v[84:85], s[14:15], v[52:53]
	v_fma_f64 v[54:55], v[84:85], s[4:5], v[52:53]
	v_mul_f64 v[52:53], v[126:127], s[8:9]
	v_add_f64 v[28:29], v[30:31], v[28:29]
	v_fma_f64 v[30:31], v[130:131], s[16:17], -v[32:33]
	v_fma_f64 v[32:33], v[120:121], s[30:31], -v[34:35]
	v_add_f64 v[24:25], v[54:55], v[24:25]
	v_mul_f64 v[54:55], v[66:67], s[14:15]
	v_fma_f64 v[34:35], v[78:79], s[26:27], -v[60:61]
	v_add_f64 v[30:31], v[0:1], v[30:31]
	v_fma_f64 v[56:57], v[82:83], s[0:1], v[54:55]
	v_add_f64 v[30:31], v[32:33], v[30:31]
	v_fma_f64 v[32:33], v[102:103], s[28:29], -v[38:39]
	v_mul_f64 v[38:39], v[128:129], s[6:7]
	v_add_f64 v[56:57], v[56:57], v[26:27]
	v_fma_f64 v[26:27], v[80:81], s[50:51], v[58:59]
	v_add_f64 v[30:31], v[32:33], v[30:31]
	v_fma_f64 v[32:33], v[96:97], s[6:7], -v[42:43]
	v_mul_f64 v[42:43], v[122:123], s[26:27]
	;; [unrolled: 5-line block ×3, first 2 shown]
	v_add_f64 v[24:25], v[24:25], v[56:57]
	v_add_f64 v[30:31], v[32:33], v[30:31]
	v_fma_f64 v[32:33], v[86:87], s[20:21], -v[50:51]
	v_mul_f64 v[50:51], v[136:137], s[52:53]
	v_add_f64 v[30:31], v[32:33], v[30:31]
	v_fma_f64 v[32:33], v[82:83], s[0:1], -v[54:55]
	v_fma_f64 v[54:55], v[120:121], s[6:7], v[52:53]
	v_add_f64 v[32:33], v[32:33], v[30:31]
	v_fma_f64 v[30:31], v[80:81], s[38:39], v[58:59]
	v_add_f64 v[30:31], v[30:31], v[28:29]
	v_add_f64 v[28:29], v[34:35], v[32:33]
	v_fma_f64 v[32:33], v[132:133], s[36:37], v[36:37]
	v_fma_f64 v[34:35], v[118:119], s[22:23], v[38:39]
	;; [unrolled: 1-line block ×4, first 2 shown]
	v_add_f64 v[32:33], v[2:3], v[32:33]
	v_add_f64 v[36:37], v[2:3], v[36:37]
	;; [unrolled: 1-line block ×3, first 2 shown]
	v_fma_f64 v[34:35], v[106:107], s[40:41], v[40:41]
	v_add_f64 v[36:37], v[38:39], v[36:37]
	v_fma_f64 v[38:39], v[106:107], s[24:25], v[40:41]
	v_fma_f64 v[40:41], v[120:121], s[6:7], -v[52:53]
	v_mul_f64 v[52:53], v[114:115], s[26:27]
	v_add_f64 v[32:33], v[34:35], v[32:33]
	v_fma_f64 v[34:35], v[98:99], s[38:39], v[42:43]
	v_add_f64 v[36:37], v[38:39], v[36:37]
	v_fma_f64 v[38:39], v[98:99], s[50:51], v[42:43]
	v_fma_f64 v[42:43], v[78:79], s[16:17], -v[146:147]
	v_add_f64 v[32:33], v[34:35], v[32:33]
	v_fma_f64 v[34:35], v[94:95], s[4:5], v[44:45]
	v_add_f64 v[36:37], v[38:39], v[36:37]
	v_fma_f64 v[38:39], v[94:95], s[14:15], v[44:45]
	v_mul_f64 v[44:45], v[134:135], s[46:47]
	v_add_f64 v[32:33], v[34:35], v[32:33]
	v_fma_f64 v[34:35], v[88:89], s[54:55], v[46:47]
	v_add_f64 v[36:37], v[38:39], v[36:37]
	v_fma_f64 v[38:39], v[88:89], s[48:49], v[46:47]
	v_mul_f64 v[46:47], v[128:129], s[0:1]
	;; [unrolled: 5-line block ×3, first 2 shown]
	v_add_f64 v[32:33], v[34:35], v[32:33]
	v_fma_f64 v[34:35], v[130:131], s[30:31], v[50:51]
	v_add_f64 v[36:37], v[38:39], v[36:37]
	v_fma_f64 v[38:39], v[130:131], s[30:31], -v[50:51]
	v_mul_f64 v[50:51], v[122:123], s[28:29]
	v_add_f64 v[34:35], v[0:1], v[34:35]
	v_add_f64 v[38:39], v[0:1], v[38:39]
	;; [unrolled: 1-line block ×3, first 2 shown]
	v_mul_f64 v[54:55], v[116:117], s[24:25]
	v_add_f64 v[38:39], v[40:41], v[38:39]
	v_fma_f64 v[56:57], v[102:103], s[20:21], v[54:55]
	v_fma_f64 v[40:41], v[102:103], s[20:21], -v[54:55]
	v_mul_f64 v[54:55], v[110:111], s[6:7]
	v_add_f64 v[34:35], v[56:57], v[34:35]
	v_mul_f64 v[56:57], v[112:113], s[50:51]
	v_add_f64 v[38:39], v[40:41], v[38:39]
	v_fma_f64 v[58:59], v[96:97], s[26:27], v[56:57]
	v_fma_f64 v[40:41], v[96:97], s[26:27], -v[56:57]
	v_mul_f64 v[56:57], v[104:105], s[16:17]
	v_add_f64 v[34:35], v[58:59], v[34:35]
	;; [unrolled: 6-line block ×4, first 2 shown]
	v_mul_f64 v[62:63], v[66:67], s[34:35]
	v_add_f64 v[38:39], v[40:41], v[38:39]
	v_fma_f64 v[40:41], v[82:83], s[28:29], -v[62:63]
	v_fma_f64 v[142:143], v[82:83], s[28:29], v[62:63]
	v_fma_f64 v[62:63], v[120:121], s[0:1], v[60:61]
	v_add_f64 v[40:41], v[40:41], v[38:39]
	v_fma_f64 v[38:39], v[80:81], s[42:43], v[144:145]
	v_add_f64 v[142:143], v[142:143], v[34:35]
	v_fma_f64 v[34:35], v[80:81], s[18:19], v[144:145]
	v_add_f64 v[38:39], v[38:39], v[36:37]
	v_add_f64 v[36:37], v[42:43], v[40:41]
	v_fma_f64 v[40:41], v[132:133], s[48:49], v[44:45]
	v_fma_f64 v[42:43], v[118:119], s[4:5], v[46:47]
	;; [unrolled: 1-line block ×4, first 2 shown]
	v_add_f64 v[34:35], v[34:35], v[32:33]
	v_fma_f64 v[32:33], v[78:79], s[16:17], v[146:147]
	v_add_f64 v[40:41], v[2:3], v[40:41]
	v_add_f64 v[44:45], v[2:3], v[44:45]
	;; [unrolled: 1-line block ×4, first 2 shown]
	v_fma_f64 v[42:43], v[106:107], s[52:53], v[48:49]
	v_add_f64 v[44:45], v[46:47], v[44:45]
	v_fma_f64 v[46:47], v[106:107], s[36:37], v[48:49]
	v_fma_f64 v[48:49], v[120:121], s[0:1], -v[60:61]
	v_mul_f64 v[60:61], v[114:115], s[20:21]
	v_add_f64 v[40:41], v[42:43], v[40:41]
	v_fma_f64 v[42:43], v[98:99], s[34:35], v[50:51]
	v_add_f64 v[44:45], v[46:47], v[44:45]
	v_fma_f64 v[46:47], v[98:99], s[44:45], v[50:51]
	;; [unrolled: 2-line block ×4, first 2 shown]
	v_fma_f64 v[52:53], v[78:79], s[20:21], -v[154:155]
	v_add_f64 v[40:41], v[42:43], v[40:41]
	v_fma_f64 v[42:43], v[88:89], s[8:9], v[54:55]
	v_add_f64 v[44:45], v[46:47], v[44:45]
	v_fma_f64 v[46:47], v[88:89], s[22:23], v[54:55]
	v_mul_f64 v[54:55], v[128:129], s[16:17]
	v_add_f64 v[40:41], v[42:43], v[40:41]
	v_fma_f64 v[42:43], v[84:85], s[42:43], v[56:57]
	v_add_f64 v[44:45], v[46:47], v[44:45]
	v_fma_f64 v[46:47], v[84:85], s[18:19], v[56:57]
	v_mul_f64 v[56:57], v[124:125], s[0:1]
	v_add_f64 v[40:41], v[42:43], v[40:41]
	v_fma_f64 v[42:43], v[130:131], s[46:47], v[58:59]
	v_add_f64 v[44:45], v[46:47], v[44:45]
	v_fma_f64 v[46:47], v[130:131], s[46:47], -v[58:59]
	v_mul_f64 v[58:59], v[122:123], s[30:31]
	v_add_f64 v[42:43], v[0:1], v[42:43]
	v_add_f64 v[46:47], v[0:1], v[46:47]
	v_add_f64 v[42:43], v[62:63], v[42:43]
	v_mul_f64 v[62:63], v[116:117], s[36:37]
	v_add_f64 v[46:47], v[48:49], v[46:47]
	v_fma_f64 v[142:143], v[102:103], s[30:31], v[62:63]
	v_fma_f64 v[48:49], v[102:103], s[30:31], -v[62:63]
	v_mul_f64 v[62:63], v[110:111], s[28:29]
	v_add_f64 v[42:43], v[142:143], v[42:43]
	v_mul_f64 v[142:143], v[112:113], s[44:45]
	v_add_f64 v[46:47], v[48:49], v[46:47]
	v_fma_f64 v[144:145], v[96:97], s[28:29], v[142:143]
	v_fma_f64 v[48:49], v[96:97], s[28:29], -v[142:143]
	v_mul_f64 v[142:143], v[104:105], s[46:47]
	v_add_f64 v[42:43], v[144:145], v[42:43]
	;; [unrolled: 6-line block ×4, first 2 shown]
	v_mul_f64 v[148:149], v[66:67], s[18:19]
	v_add_f64 v[46:47], v[48:49], v[46:47]
	v_fma_f64 v[48:49], v[82:83], s[16:17], -v[148:149]
	v_fma_f64 v[150:151], v[82:83], s[16:17], v[148:149]
	v_fma_f64 v[148:149], v[120:121], s[16:17], v[146:147]
	v_add_f64 v[46:47], v[48:49], v[46:47]
	v_fma_f64 v[48:49], v[80:81], s[24:25], v[152:153]
	v_add_f64 v[150:151], v[150:151], v[42:43]
	;; [unrolled: 2-line block ×3, first 2 shown]
	v_add_f64 v[48:49], v[52:53], v[46:47]
	v_mul_f64 v[52:53], v[134:135], s[26:27]
	v_fma_f64 v[46:47], v[118:119], s[18:19], v[54:55]
	v_fma_f64 v[54:55], v[118:119], s[42:43], v[54:55]
	v_add_f64 v[42:43], v[42:43], v[40:41]
	v_fma_f64 v[40:41], v[78:79], s[20:21], v[154:155]
	v_fma_f64 v[44:45], v[132:133], s[38:39], v[52:53]
	;; [unrolled: 1-line block ×3, first 2 shown]
	v_add_f64 v[40:41], v[40:41], v[150:151]
	v_add_f64 v[44:45], v[2:3], v[44:45]
	v_add_f64 v[52:53], v[2:3], v[52:53]
	v_add_f64 v[44:45], v[46:47], v[44:45]
	v_fma_f64 v[46:47], v[106:107], s[14:15], v[56:57]
	v_add_f64 v[52:53], v[54:55], v[52:53]
	v_fma_f64 v[54:55], v[106:107], s[4:5], v[56:57]
	v_fma_f64 v[56:57], v[120:121], s[16:17], -v[146:147]
	v_mul_f64 v[146:147], v[114:115], s[6:7]
	v_mul_f64 v[114:115], v[114:115], s[30:31]
	v_add_f64 v[44:45], v[46:47], v[44:45]
	v_fma_f64 v[46:47], v[98:99], s[52:53], v[58:59]
	v_add_f64 v[52:53], v[54:55], v[52:53]
	v_fma_f64 v[54:55], v[98:99], s[36:37], v[58:59]
	;; [unrolled: 2-line block ×4, first 2 shown]
	v_fma_f64 v[60:61], v[78:79], s[6:7], -v[162:163]
	v_add_f64 v[44:45], v[46:47], v[44:45]
	v_fma_f64 v[46:47], v[88:89], s[44:45], v[62:63]
	v_add_f64 v[52:53], v[54:55], v[52:53]
	v_fma_f64 v[54:55], v[88:89], s[34:35], v[62:63]
	v_mul_f64 v[62:63], v[128:129], s[46:47]
	v_mul_f64 v[128:129], v[128:129], s[20:21]
	v_add_f64 v[44:45], v[46:47], v[44:45]
	v_fma_f64 v[46:47], v[84:85], s[48:49], v[142:143]
	v_add_f64 v[52:53], v[54:55], v[52:53]
	v_fma_f64 v[54:55], v[84:85], s[54:55], v[142:143]
	v_mul_f64 v[142:143], v[124:125], s[16:17]
	v_mul_f64 v[124:125], v[124:125], s[26:27]
	v_add_f64 v[44:45], v[46:47], v[44:45]
	v_fma_f64 v[46:47], v[130:131], s[26:27], v[144:145]
	v_add_f64 v[52:53], v[54:55], v[52:53]
	v_fma_f64 v[54:55], v[130:131], s[26:27], -v[144:145]
	v_mul_f64 v[144:145], v[122:123], s[0:1]
	v_mul_f64 v[122:123], v[122:123], s[46:47]
	v_add_f64 v[46:47], v[0:1], v[46:47]
	v_add_f64 v[54:55], v[0:1], v[54:55]
	;; [unrolled: 1-line block ×3, first 2 shown]
	v_mul_f64 v[148:149], v[116:117], s[4:5]
	v_add_f64 v[54:55], v[56:57], v[54:55]
	v_fma_f64 v[150:151], v[102:103], s[0:1], v[148:149]
	v_fma_f64 v[56:57], v[102:103], s[0:1], -v[148:149]
	v_mul_f64 v[148:149], v[110:111], s[30:31]
	v_mul_f64 v[110:111], v[110:111], s[16:17]
	v_add_f64 v[46:47], v[150:151], v[46:47]
	v_mul_f64 v[150:151], v[112:113], s[36:37]
	v_add_f64 v[54:55], v[56:57], v[54:55]
	v_fma_f64 v[152:153], v[96:97], s[30:31], v[150:151]
	v_fma_f64 v[56:57], v[96:97], s[30:31], -v[150:151]
	v_mul_f64 v[150:151], v[104:105], s[26:27]
	v_mul_f64 v[104:105], v[104:105], s[6:7]
	v_add_f64 v[46:47], v[152:153], v[46:47]
	v_mul_f64 v[152:153], v[108:109], s[24:25]
	v_add_f64 v[54:55], v[56:57], v[54:55]
	v_fma_f64 v[154:155], v[92:93], s[20:21], v[152:153]
	v_fma_f64 v[56:57], v[92:93], s[20:21], -v[152:153]
	v_mul_f64 v[152:153], v[136:137], s[40:41]
	v_add_f64 v[46:47], v[154:155], v[46:47]
	v_mul_f64 v[154:155], v[100:101], s[34:35]
	v_add_f64 v[54:55], v[56:57], v[54:55]
	v_fma_f64 v[156:157], v[86:87], s[28:29], v[154:155]
	v_fma_f64 v[56:57], v[86:87], s[28:29], -v[154:155]
	v_mul_f64 v[154:155], v[126:127], s[54:55]
	v_mul_f64 v[126:127], v[126:127], s[40:41]
	v_add_f64 v[46:47], v[156:157], v[46:47]
	v_mul_f64 v[156:157], v[66:67], s[54:55]
	v_add_f64 v[54:55], v[56:57], v[54:55]
	v_fma_f64 v[56:57], v[82:83], s[46:47], -v[156:157]
	v_fma_f64 v[158:159], v[82:83], s[46:47], v[156:157]
	v_fma_f64 v[156:157], v[120:121], s[46:47], v[154:155]
	v_add_f64 v[54:55], v[56:57], v[54:55]
	v_fma_f64 v[56:57], v[80:81], s[22:23], v[160:161]
	v_add_f64 v[158:159], v[158:159], v[46:47]
	;; [unrolled: 2-line block ×3, first 2 shown]
	v_add_f64 v[56:57], v[60:61], v[54:55]
	v_mul_f64 v[60:61], v[134:135], s[20:21]
	v_fma_f64 v[54:55], v[118:119], s[48:49], v[62:63]
	v_fma_f64 v[62:63], v[118:119], s[54:55], v[62:63]
	v_add_f64 v[46:47], v[46:47], v[44:45]
	v_fma_f64 v[44:45], v[78:79], s[6:7], v[162:163]
	v_mul_f64 v[134:135], v[134:135], s[28:29]
	v_fma_f64 v[52:53], v[132:133], s[24:25], v[60:61]
	v_fma_f64 v[60:61], v[132:133], s[40:41], v[60:61]
	v_add_f64 v[44:45], v[44:45], v[158:159]
	v_add_f64 v[52:53], v[2:3], v[52:53]
	;; [unrolled: 1-line block ×4, first 2 shown]
	v_fma_f64 v[54:55], v[106:107], s[18:19], v[142:143]
	v_add_f64 v[60:61], v[62:63], v[60:61]
	v_fma_f64 v[62:63], v[106:107], s[42:43], v[142:143]
	v_fma_f64 v[142:143], v[120:121], s[46:47], -v[154:155]
	v_add_f64 v[52:53], v[54:55], v[52:53]
	v_fma_f64 v[54:55], v[98:99], s[4:5], v[144:145]
	v_add_f64 v[60:61], v[62:63], v[60:61]
	v_fma_f64 v[62:63], v[98:99], s[14:15], v[144:145]
	v_fma_f64 v[144:145], v[78:79], s[28:29], -v[170:171]
	v_add_f64 v[52:53], v[54:55], v[52:53]
	v_fma_f64 v[54:55], v[94:95], s[22:23], v[146:147]
	v_add_f64 v[60:61], v[62:63], v[60:61]
	v_fma_f64 v[62:63], v[94:95], s[8:9], v[146:147]
	;; [unrolled: 2-line block ×7, first 2 shown]
	v_add_f64 v[60:61], v[62:63], v[60:61]
	v_fma_f64 v[62:63], v[130:131], s[20:21], -v[152:153]
	v_add_f64 v[54:55], v[0:1], v[54:55]
	v_add_f64 v[62:63], v[0:1], v[62:63]
	;; [unrolled: 1-line block ×3, first 2 shown]
	v_mul_f64 v[156:157], v[116:117], s[42:43]
	v_add_f64 v[62:63], v[142:143], v[62:63]
	v_mul_f64 v[116:117], v[116:117], s[50:51]
	v_fma_f64 v[158:159], v[102:103], s[16:17], v[156:157]
	v_fma_f64 v[142:143], v[102:103], s[16:17], -v[156:157]
	v_add_f64 v[54:55], v[158:159], v[54:55]
	v_mul_f64 v[158:159], v[112:113], s[14:15]
	v_add_f64 v[62:63], v[142:143], v[62:63]
	v_mul_f64 v[112:113], v[112:113], s[54:55]
	v_fma_f64 v[160:161], v[96:97], s[0:1], v[158:159]
	v_fma_f64 v[142:143], v[96:97], s[0:1], -v[158:159]
	v_add_f64 v[54:55], v[160:161], v[54:55]
	;; [unrolled: 6-line block ×4, first 2 shown]
	v_mul_f64 v[164:165], v[66:67], s[38:39]
	v_add_f64 v[62:63], v[142:143], v[62:63]
	v_fma_f64 v[142:143], v[82:83], s[26:27], -v[164:165]
	v_fma_f64 v[166:167], v[82:83], s[26:27], v[164:165]
	v_add_f64 v[142:143], v[142:143], v[62:63]
	v_fma_f64 v[62:63], v[80:81], s[44:45], v[168:169]
	v_add_f64 v[166:167], v[166:167], v[54:55]
	;; [unrolled: 2-line block ×3, first 2 shown]
	v_add_f64 v[60:61], v[144:145], v[142:143]
	v_fma_f64 v[142:143], v[132:133], s[44:45], v[134:135]
	v_fma_f64 v[132:133], v[132:133], s[34:35], v[134:135]
	v_mul_f64 v[134:135], v[136:137], s[34:35]
	v_add_f64 v[54:55], v[54:55], v[52:53]
	v_fma_f64 v[52:53], v[78:79], s[28:29], v[170:171]
	v_fma_f64 v[136:137], v[130:131], s[28:29], v[134:135]
	v_fma_f64 v[130:131], v[130:131], s[28:29], -v[134:135]
	v_add_f64 v[134:135], v[2:3], v[142:143]
	v_add_f64 v[2:3], v[2:3], v[132:133]
	v_mul_f64 v[132:133], v[64:65], s[14:15]
	v_fma_f64 v[64:65], v[80:81], s[14:15], v[90:91]
	v_fma_f64 v[80:81], v[80:81], s[4:5], v[90:91]
	v_add_f64 v[52:53], v[52:53], v[166:167]
	v_add_f64 v[136:137], v[0:1], v[136:137]
	;; [unrolled: 1-line block ×3, first 2 shown]
	v_fma_f64 v[130:131], v[118:119], s[40:41], v[128:129]
	v_add_f64 v[2:3], v[130:131], v[2:3]
	v_fma_f64 v[130:131], v[106:107], s[50:51], v[124:125]
	v_fma_f64 v[106:107], v[106:107], s[38:39], v[124:125]
	v_add_f64 v[2:3], v[130:131], v[2:3]
	v_fma_f64 v[130:131], v[98:99], s[54:55], v[122:123]
	;; [unrolled: 3-line block ×5, first 2 shown]
	v_fma_f64 v[84:85], v[84:85], s[8:9], v[104:105]
	v_add_f64 v[2:3], v[130:131], v[2:3]
	v_fma_f64 v[130:131], v[120:121], s[20:21], -v[126:127]
	v_add_f64 v[0:1], v[130:131], v[0:1]
	v_fma_f64 v[130:131], v[102:103], s[26:27], -v[116:117]
	v_fma_f64 v[102:103], v[102:103], s[26:27], v[116:117]
	v_add_f64 v[0:1], v[130:131], v[0:1]
	v_fma_f64 v[130:131], v[96:97], s[46:47], -v[112:113]
	v_fma_f64 v[96:97], v[96:97], s[46:47], v[112:113]
	;; [unrolled: 3-line block ×4, first 2 shown]
	v_add_f64 v[0:1], v[130:131], v[0:1]
	v_mul_f64 v[130:131], v[66:67], s[22:23]
	v_fma_f64 v[66:67], v[82:83], s[6:7], -v[130:131]
	v_fma_f64 v[82:83], v[82:83], s[6:7], v[130:131]
	v_add_f64 v[0:1], v[66:67], v[0:1]
	v_add_f64 v[66:67], v[64:65], v[2:3]
	v_fma_f64 v[2:3], v[78:79], s[0:1], -v[132:133]
	v_fma_f64 v[78:79], v[78:79], s[0:1], v[132:133]
	v_add_f64 v[64:65], v[2:3], v[0:1]
	v_fma_f64 v[0:1], v[118:119], s[24:25], v[128:129]
	v_fma_f64 v[2:3], v[120:121], s[20:21], v[126:127]
	v_add_f64 v[0:1], v[0:1], v[134:135]
	v_add_f64 v[2:3], v[2:3], v[136:137]
	;; [unrolled: 1-line block ×14, first 2 shown]
	v_mul_u32_u24_e32 v78, 0x110, v70
	v_add3_u32 v78, 0, v78, v140
	ds_write_b128 v78, v[4:7]
	ds_write_b128 v78, v[64:67] offset:16
	ds_write_b128 v78, v[60:63] offset:32
	;; [unrolled: 1-line block ×16, first 2 shown]
.LBB0_20:
	s_or_b32 exec_lo, exec_lo, s33
	v_and_b32_e32 v0, 0xff, v70
	v_add_nc_u16 v1, v70, 0x44
	v_add_nc_u32_e32 v28, 0xcc, v70
	v_mov_b32_e32 v2, 0xf0f1
	v_add_nc_u16 v31, v70, 0x88
	v_mul_lo_u16 v0, 0xf1, v0
	v_and_b32_e32 v3, 0xff, v1
	v_mov_b32_e32 v30, 3
	v_mul_u32_u24_sdwa v40, v28, v2 dst_sel:DWORD dst_unused:UNUSED_PAD src0_sel:WORD_0 src1_sel:DWORD
	v_and_b32_e32 v41, 0xff, v31
	v_lshrrev_b16 v39, 12, v0
	v_mul_lo_u16 v0, 0xf1, v3
	s_waitcnt lgkmcnt(0)
	v_lshrrev_b32_e32 v37, 20, v40
	v_mul_lo_u16 v3, 0xf1, v41
	v_mul_lo_u16 v2, v39, 17
	v_lshrrev_b16 v36, 12, v0
	s_barrier
	v_mul_lo_u16 v0, v37, 17
	v_lshrrev_b16 v38, 12, v3
	v_sub_nc_u16 v32, v70, v2
	v_mul_lo_u16 v2, v36, 17
	buffer_gl0_inv
	v_sub_nc_u16 v33, v28, v0
	v_mul_lo_u16 v0, v38, 17
	v_mul_u32_u24_sdwa v3, v32, v30 dst_sel:DWORD dst_unused:UNUSED_PAD src0_sel:BYTE_0 src1_sel:DWORD
	v_sub_nc_u16 v34, v1, v2
	v_mul_lo_u16 v41, 0x79, v41
	v_mul_u32_u24_sdwa v2, v33, v30 dst_sel:DWORD dst_unused:UNUSED_PAD src0_sel:WORD_0 src1_sel:DWORD
	v_sub_nc_u16 v35, v31, v0
	v_lshlrev_b32_e32 v1, 4, v3
	v_mul_u32_u24_sdwa v0, v34, v30 dst_sel:DWORD dst_unused:UNUSED_PAD src0_sel:BYTE_0 src1_sel:DWORD
	v_mov_b32_e32 v29, 4
	v_lshlrev_b32_e32 v2, 4, v2
	v_mul_u32_u24_sdwa v3, v35, v30 dst_sel:DWORD dst_unused:UNUSED_PAD src0_sel:BYTE_0 src1_sel:DWORD
	s_clause 0x2
	global_load_dwordx4 v[18:21], v1, s[12:13]
	global_load_dwordx4 v[22:25], v1, s[12:13] offset:16
	global_load_dwordx4 v[42:45], v1, s[12:13] offset:32
	v_lshlrev_b32_e32 v0, 4, v0
	v_lshlrev_b32_e32 v1, 4, v3
	s_clause 0x8
	global_load_dwordx4 v[46:49], v2, s[12:13] offset:16
	global_load_dwordx4 v[50:53], v2, s[12:13] offset:32
	global_load_dwordx4 v[54:57], v0, s[12:13]
	global_load_dwordx4 v[58:61], v0, s[12:13] offset:16
	global_load_dwordx4 v[62:65], v0, s[12:13] offset:32
	global_load_dwordx4 v[78:81], v1, s[12:13]
	;; [unrolled: 3-line block ×3, first 2 shown]
	ds_read_b128 v[94:97], v71 offset:4352
	ds_read_b128 v[98:101], v71 offset:8704
	;; [unrolled: 1-line block ×10, first 2 shown]
	ds_read_b128 v[12:15], v139
	ds_read_b128 v[8:11], v71 offset:1088
	ds_read_b128 v[134:137], v71 offset:6528
	;; [unrolled: 1-line block ×5, first 2 shown]
	s_waitcnt vmcnt(0) lgkmcnt(0)
	s_barrier
	buffer_gl0_inv
	v_mul_f64 v[16:17], v[96:97], v[20:21]
	v_mul_f64 v[20:21], v[94:95], v[20:21]
	;; [unrolled: 1-line block ×24, first 2 shown]
	v_fma_f64 v[16:17], v[94:95], v[18:19], -v[16:17]
	v_fma_f64 v[18:19], v[96:97], v[18:19], v[20:21]
	v_fma_f64 v[94:95], v[98:99], v[22:23], -v[26:27]
	v_fma_f64 v[96:97], v[100:101], v[22:23], v[24:25]
	;; [unrolled: 2-line block ×12, first 2 shown]
	v_add_f64 v[84:85], v[12:13], -v[94:95]
	v_add_f64 v[86:87], v[14:15], -v[96:97]
	;; [unrolled: 1-line block ×4, first 2 shown]
	v_mul_u32_u24_e32 v92, 3, v70
	v_add_f64 v[90:91], v[2:3], -v[46:47]
	v_lshrrev_b32_e32 v103, 22, v40
	v_and_b32_e32 v104, 0xffff, v39
	v_add_f64 v[48:49], v[8:9], -v[48:49]
	v_add_f64 v[54:55], v[10:11], -v[54:55]
	;; [unrolled: 1-line block ×4, first 2 shown]
	v_lshlrev_b32_e32 v102, 4, v92
	v_lshlrev_b32_sdwa v105, v29, v32 dst_sel:DWORD dst_unused:UNUSED_PAD src0_sel:DWORD src1_sel:BYTE_0
	v_add_f64 v[60:61], v[4:5], -v[60:61]
	v_add_f64 v[88:89], v[6:7], -v[62:63]
	;; [unrolled: 1-line block ×5, first 2 shown]
	v_lshlrev_b32_sdwa v106, v29, v33 dst_sel:DWORD dst_unused:UNUSED_PAD src0_sel:DWORD src1_sel:WORD_0
	v_add_f64 v[44:45], v[52:53], -v[80:81]
	v_add_f64 v[46:47], v[82:83], -v[50:51]
	v_fma_f64 v[50:51], v[12:13], 2.0, -v[84:85]
	v_fma_f64 v[80:81], v[14:15], 2.0, -v[86:87]
	;; [unrolled: 1-line block ×4, first 2 shown]
	v_lshlrev_b32_sdwa v107, v29, v34 dst_sel:DWORD dst_unused:UNUSED_PAD src0_sel:DWORD src1_sel:BYTE_0
	v_fma_f64 v[100:101], v[2:3], 2.0, -v[90:91]
	v_lshlrev_b32_sdwa v108, v29, v35 dst_sel:DWORD dst_unused:UNUSED_PAD src0_sel:DWORD src1_sel:BYTE_0
	v_fma_f64 v[92:93], v[8:9], 2.0, -v[48:49]
	v_fma_f64 v[94:95], v[10:11], 2.0, -v[54:55]
	;; [unrolled: 1-line block ×9, first 2 shown]
	v_add_f64 v[1:2], v[84:85], -v[42:43]
	v_fma_f64 v[39:40], v[52:53], 2.0, -v[44:45]
	v_fma_f64 v[52:53], v[82:83], 2.0, -v[46:47]
	v_add_f64 v[3:4], v[86:87], v[66:67]
	v_add_f64 v[5:6], v[48:49], -v[58:59]
	v_add_f64 v[9:10], v[50:51], -v[12:13]
	;; [unrolled: 1-line block ×3, first 2 shown]
	v_add_f64 v[7:8], v[54:55], v[56:57]
	v_add_f64 v[13:14], v[60:61], -v[64:65]
	v_mad_u32_u24 v27, 0x440, v37, 0
	v_lshrrev_b16 v0, 13, v41
	v_mul_lo_u16 v82, 0x44, v103
	v_and_b32_e32 v103, 0xffff, v36
	v_add_f64 v[17:18], v[92:93], -v[16:17]
	v_add_f64 v[19:20], v[94:95], -v[19:20]
	v_add_f64 v[15:16], v[88:89], v[62:63]
	v_add_f64 v[36:37], v[78:79], -v[46:47]
	v_mad_u32_u24 v83, 0x440, v104, 0
	v_and_b32_e32 v104, 0xffff, v38
	v_add_f64 v[21:22], v[96:97], -v[21:22]
	v_add_f64 v[23:24], v[98:99], -v[23:24]
	v_mul_lo_u16 v0, 0x44, v0
	v_fma_f64 v[32:33], v[84:85], 2.0, -v[1:2]
	v_add_f64 v[40:41], v[25:26], -v[39:40]
	v_add_f64 v[42:43], v[100:101], -v[52:53]
	v_add_f64 v[38:39], v[90:91], v[44:45]
	v_fma_f64 v[34:35], v[86:87], 2.0, -v[3:4]
	v_fma_f64 v[44:45], v[48:49], 2.0, -v[5:6]
	;; [unrolled: 1-line block ×6, first 2 shown]
	v_mad_u32_u24 v103, 0x440, v103, 0
	v_mad_u32_u24 v104, 0x440, v104, 0
	v_sub_nc_u16 v0, v31, v0
	v_fma_f64 v[56:57], v[92:93], 2.0, -v[17:18]
	v_fma_f64 v[58:59], v[94:95], 2.0, -v[19:20]
	;; [unrolled: 1-line block ×4, first 2 shown]
	v_add3_u32 v31, v104, v108, v140
	v_fma_f64 v[60:61], v[96:97], 2.0, -v[21:22]
	v_fma_f64 v[62:63], v[98:99], 2.0, -v[23:24]
	;; [unrolled: 1-line block ×5, first 2 shown]
	v_add3_u32 v25, v83, v105, v140
	v_add3_u32 v26, v27, v106, v140
	;; [unrolled: 1-line block ×3, first 2 shown]
	ds_write_b128 v25, v[1:4] offset:816
	ds_write_b128 v25, v[32:35] offset:272
	;; [unrolled: 1-line block ×3, first 2 shown]
	ds_write_b128 v25, v[48:51]
	ds_write_b128 v27, v[44:47] offset:272
	ds_write_b128 v27, v[17:20] offset:544
	;; [unrolled: 1-line block ×3, first 2 shown]
	ds_write_b128 v27, v[56:59]
	ds_write_b128 v31, v[60:63]
	ds_write_b128 v31, v[52:55] offset:272
	ds_write_b128 v31, v[21:24] offset:544
	;; [unrolled: 1-line block ×3, first 2 shown]
	ds_write_b128 v26, v[78:81]
	ds_write_b128 v26, v[64:67] offset:272
	ds_write_b128 v26, v[40:43] offset:544
	;; [unrolled: 1-line block ×3, first 2 shown]
	v_mul_u32_u24_sdwa v14, v0, v30 dst_sel:DWORD dst_unused:UNUSED_PAD src0_sel:BYTE_0 src1_sel:DWORD
	v_sub_nc_u16 v5, v28, v82
	s_waitcnt lgkmcnt(0)
	s_barrier
	buffer_gl0_inv
	v_lshlrev_b32_e32 v22, 4, v14
	v_mul_u32_u24_sdwa v18, v5, v30 dst_sel:DWORD dst_unused:UNUSED_PAD src0_sel:WORD_0 src1_sel:DWORD
	s_clause 0x2
	global_load_dwordx4 v[1:4], v102, s[12:13] offset:816
	global_load_dwordx4 v[6:9], v102, s[12:13] offset:832
	;; [unrolled: 1-line block ×3, first 2 shown]
	v_lshlrev_b32_sdwa v5, v29, v5 dst_sel:DWORD dst_unused:UNUSED_PAD src0_sel:DWORD src1_sel:WORD_0
	global_load_dwordx4 v[14:17], v22, s[12:13] offset:816
	v_lshlrev_b32_e32 v26, 4, v18
	s_clause 0x4
	global_load_dwordx4 v[18:21], v22, s[12:13] offset:832
	global_load_dwordx4 v[22:25], v22, s[12:13] offset:848
	global_load_dwordx4 v[30:33], v26, s[12:13] offset:816
	global_load_dwordx4 v[34:37], v26, s[12:13] offset:832
	global_load_dwordx4 v[38:41], v26, s[12:13] offset:848
	ds_read_b128 v[42:45], v71 offset:4352
	ds_read_b128 v[46:49], v71 offset:8704
	;; [unrolled: 1-line block ×6, first 2 shown]
	ds_read_b128 v[78:81], v139
	ds_read_b128 v[82:85], v71 offset:1088
	ds_read_b128 v[86:89], v71 offset:6528
	;; [unrolled: 1-line block ×9, first 2 shown]
	v_lshlrev_b32_sdwa v0, v29, v0 dst_sel:DWORD dst_unused:UNUSED_PAD src0_sel:DWORD src1_sel:BYTE_0
	v_add3_u32 v5, 0, v5, v140
	s_waitcnt vmcnt(0) lgkmcnt(0)
	s_barrier
	buffer_gl0_inv
	v_add3_u32 v0, 0, v0, v140
	v_mul_f64 v[26:27], v[44:45], v[3:4]
	v_mul_f64 v[66:67], v[42:43], v[3:4]
	;; [unrolled: 1-line block ×24, first 2 shown]
	v_fma_f64 v[26:27], v[42:43], v[1:2], -v[26:27]
	v_fma_f64 v[42:43], v[44:45], v[1:2], v[66:67]
	v_fma_f64 v[44:45], v[46:47], v[6:7], -v[118:119]
	v_fma_f64 v[46:47], v[48:49], v[6:7], v[120:121]
	;; [unrolled: 2-line block ×12, first 2 shown]
	v_add_f64 v[44:45], v[78:79], -v[44:45]
	v_add_f64 v[46:47], v[80:81], -v[46:47]
	;; [unrolled: 1-line block ×8, first 2 shown]
	v_add_co_u32 v3, s0, s12, v74
	v_add_f64 v[58:59], v[98:99], -v[16:17]
	v_add_f64 v[60:61], v[100:101], -v[18:19]
	;; [unrolled: 1-line block ×4, first 2 shown]
	v_add_co_ci_u32_e64 v4, s0, s13, v75, s0
	v_add_f64 v[62:63], v[102:103], -v[32:33]
	v_add_f64 v[64:65], v[104:105], -v[34:35]
	;; [unrolled: 1-line block ×4, first 2 shown]
	v_fma_f64 v[66:67], v[78:79], 2.0, -v[44:45]
	v_fma_f64 v[74:75], v[80:81], 2.0, -v[46:47]
	;; [unrolled: 1-line block ×4, first 2 shown]
	v_add_f64 v[6:7], v[44:45], -v[48:49]
	v_add_f64 v[8:9], v[46:47], v[40:41]
	v_fma_f64 v[78:79], v[82:83], 2.0, -v[50:51]
	v_fma_f64 v[80:81], v[84:85], 2.0, -v[54:55]
	;; [unrolled: 1-line block ×4, first 2 shown]
	v_add_f64 v[10:11], v[50:51], -v[10:11]
	v_add_co_u32 v1, s0, s12, v76
	v_fma_f64 v[82:83], v[98:99], 2.0, -v[58:59]
	v_fma_f64 v[84:85], v[100:101], 2.0, -v[60:61]
	;; [unrolled: 1-line block ×4, first 2 shown]
	v_add_f64 v[12:13], v[54:55], v[56:57]
	v_fma_f64 v[86:87], v[102:103], 2.0, -v[62:63]
	v_fma_f64 v[88:89], v[104:105], 2.0, -v[64:65]
	;; [unrolled: 1-line block ×4, first 2 shown]
	v_add_f64 v[14:15], v[58:59], -v[18:19]
	v_add_f64 v[16:17], v[60:61], v[16:17]
	v_add_f64 v[18:19], v[66:67], -v[20:21]
	v_add_f64 v[20:21], v[74:75], -v[22:23]
	;; [unrolled: 1-line block ×3, first 2 shown]
	v_add_f64 v[36:37], v[64:65], v[36:37]
	v_fma_f64 v[28:29], v[46:47], 2.0, -v[8:9]
	v_add_co_ci_u32_e64 v2, s0, s13, v77, s0
	v_add_f64 v[22:23], v[78:79], -v[26:27]
	v_add_f64 v[24:25], v[80:81], -v[32:33]
	v_fma_f64 v[26:27], v[44:45], 2.0, -v[6:7]
	v_add_co_u32 v92, s0, 0x800, v3
	v_add_co_ci_u32_e64 v93, s0, 0, v4, s0
	v_add_f64 v[30:31], v[82:83], -v[38:39]
	v_add_f64 v[32:33], v[84:85], -v[42:43]
	v_fma_f64 v[42:43], v[50:51], 2.0, -v[10:11]
	v_fma_f64 v[44:45], v[54:55], 2.0, -v[12:13]
	v_add_f64 v[38:39], v[86:87], -v[52:53]
	v_add_f64 v[40:41], v[88:89], -v[90:91]
	v_fma_f64 v[46:47], v[58:59], 2.0, -v[14:15]
	v_fma_f64 v[48:49], v[60:61], 2.0, -v[16:17]
	;; [unrolled: 1-line block ×6, first 2 shown]
	v_add_co_u32 v90, s0, 0x1000, v1
	v_add_co_ci_u32_e64 v91, s0, 0, v2, s0
	v_fma_f64 v[54:55], v[78:79], 2.0, -v[22:23]
	v_fma_f64 v[56:57], v[80:81], 2.0, -v[24:25]
	v_add_co_u32 v66, s0, 0x1800, v1
	v_add_co_ci_u32_e64 v67, s0, 0, v2, s0
	v_fma_f64 v[58:59], v[82:83], 2.0, -v[30:31]
	v_fma_f64 v[60:61], v[84:85], 2.0, -v[32:33]
	;; [unrolled: 1-line block ×4, first 2 shown]
	ds_write_b128 v71, v[6:9] offset:3264
	ds_write_b128 v71, v[10:13] offset:7616
	ds_write_b128 v71, v[26:29] offset:1088
	ds_write_b128 v71, v[18:21] offset:2176
	ds_write_b128 v71, v[42:45] offset:5440
	ds_write_b128 v71, v[22:25] offset:6528
	ds_write_b128 v71, v[50:53]
	ds_write_b128 v71, v[54:57] offset:4352
	ds_write_b128 v0, v[58:61] offset:8704
	;; [unrolled: 1-line block ×9, first 2 shown]
	s_waitcnt lgkmcnt(0)
	s_barrier
	buffer_gl0_inv
	s_clause 0x3
	global_load_dwordx4 v[5:8], v[92:93], off offset:2032
	global_load_dwordx4 v[9:12], v[90:91], off offset:1072
	;; [unrolled: 1-line block ×4, first 2 shown]
	ds_read_b128 v[21:24], v71 offset:8704
	ds_read_b128 v[25:28], v71 offset:9792
	;; [unrolled: 1-line block ×8, first 2 shown]
	ds_read_b128 v[53:56], v139
	ds_read_b128 v[57:60], v71 offset:1088
	ds_read_b128 v[61:64], v71 offset:2176
	;; [unrolled: 1-line block ×5, first 2 shown]
	v_add_nc_u32_e32 v0, v141, v140
	s_waitcnt vmcnt(3) lgkmcnt(13)
	v_mul_f64 v[65:66], v[23:24], v[7:8]
	v_mul_f64 v[86:87], v[21:22], v[7:8]
	s_waitcnt vmcnt(2) lgkmcnt(12)
	v_mul_f64 v[88:89], v[27:28], v[11:12]
	v_mul_f64 v[90:91], v[25:26], v[11:12]
	;; [unrolled: 3-line block ×4, first 2 shown]
	s_waitcnt lgkmcnt(9)
	v_mul_f64 v[100:101], v[39:40], v[7:8]
	v_mul_f64 v[7:8], v[37:38], v[7:8]
	s_waitcnt lgkmcnt(8)
	v_mul_f64 v[102:103], v[43:44], v[11:12]
	v_mul_f64 v[11:12], v[41:42], v[11:12]
	;; [unrolled: 3-line block ×4, first 2 shown]
	v_fma_f64 v[21:22], v[21:22], v[5:6], -v[65:66]
	v_fma_f64 v[23:24], v[23:24], v[5:6], v[86:87]
	v_fma_f64 v[25:26], v[25:26], v[9:10], -v[88:89]
	v_fma_f64 v[27:28], v[27:28], v[9:10], v[90:91]
	;; [unrolled: 2-line block ×8, first 2 shown]
	ds_read_b128 v[5:8], v71 offset:6528
	ds_read_b128 v[9:12], v71 offset:7616
	v_add_co_u32 v65, s0, 0x2000, v3
	v_add_co_ci_u32_e64 v66, s0, 0, v4, s0
	s_waitcnt lgkmcnt(7)
	v_add_f64 v[13:14], v[53:54], -v[21:22]
	v_add_f64 v[15:16], v[55:56], -v[23:24]
	s_waitcnt lgkmcnt(6)
	v_add_f64 v[17:18], v[57:58], -v[25:26]
	v_add_f64 v[19:20], v[59:60], -v[27:28]
	;; [unrolled: 3-line block ×6, first 2 shown]
	v_add_co_u32 v86, s0, 0x2000, v1
	s_waitcnt lgkmcnt(1)
	v_add_f64 v[37:38], v[5:6], -v[45:46]
	v_add_f64 v[39:40], v[7:8], -v[47:48]
	s_waitcnt lgkmcnt(0)
	v_add_f64 v[41:42], v[9:10], -v[49:50]
	v_add_f64 v[43:44], v[11:12], -v[51:52]
	v_add_co_ci_u32_e64 v87, s0, 0, v2, s0
	v_add_co_u32 v88, s0, 0x2800, v1
	v_fma_f64 v[45:46], v[53:54], 2.0, -v[13:14]
	v_fma_f64 v[47:48], v[55:56], 2.0, -v[15:16]
	v_fma_f64 v[49:50], v[57:58], 2.0, -v[17:18]
	v_fma_f64 v[51:52], v[59:60], 2.0, -v[19:20]
	v_fma_f64 v[53:54], v[61:62], 2.0, -v[21:22]
	v_fma_f64 v[55:56], v[63:64], 2.0, -v[23:24]
	v_fma_f64 v[57:58], v[74:75], 2.0, -v[25:26]
	v_fma_f64 v[59:60], v[76:77], 2.0, -v[27:28]
	v_fma_f64 v[61:62], v[78:79], 2.0, -v[29:30]
	v_fma_f64 v[63:64], v[80:81], 2.0, -v[31:32]
	v_fma_f64 v[74:75], v[82:83], 2.0, -v[33:34]
	v_fma_f64 v[76:77], v[84:85], 2.0, -v[35:36]
	v_add_co_ci_u32_e64 v89, s0, 0, v2, s0
	v_fma_f64 v[3:4], v[5:6], 2.0, -v[37:38]
	v_fma_f64 v[5:6], v[7:8], 2.0, -v[39:40]
	;; [unrolled: 1-line block ×4, first 2 shown]
	v_add_co_u32 v78, s0, 0x3000, v1
	v_add_co_ci_u32_e64 v79, s0, 0, v2, s0
	v_add_co_u32 v1, s0, 0x3800, v1
	s_barrier
	buffer_gl0_inv
	ds_write_b128 v71, v[13:16] offset:4352
	ds_write_b128 v0, v[17:20] offset:5440
	;; [unrolled: 1-line block ×8, first 2 shown]
	ds_write_b128 v71, v[45:48]
	ds_write_b128 v71, v[49:52] offset:1088
	ds_write_b128 v71, v[53:56] offset:2176
	ds_write_b128 v71, v[57:60] offset:3264
	ds_write_b128 v71, v[61:64] offset:8704
	ds_write_b128 v0, v[74:77] offset:9792
	ds_write_b128 v0, v[3:6] offset:10880
	ds_write_b128 v0, v[7:10] offset:11968
	s_waitcnt lgkmcnt(0)
	s_barrier
	buffer_gl0_inv
	s_clause 0x3
	global_load_dwordx4 v[3:6], v[65:66], off offset:240
	global_load_dwordx4 v[7:10], v[86:87], off offset:1328
	global_load_dwordx4 v[11:14], v[88:89], off offset:368
	global_load_dwordx4 v[15:18], v[88:89], off offset:1456
	v_add_co_ci_u32_e64 v2, s0, 0, v2, s0
	s_clause 0x3
	global_load_dwordx4 v[19:22], v[78:79], off offset:496
	global_load_dwordx4 v[23:26], v[78:79], off offset:1584
	;; [unrolled: 1-line block ×4, first 2 shown]
	ds_read_b128 v[35:38], v71 offset:8704
	ds_read_b128 v[39:42], v71 offset:9792
	;; [unrolled: 1-line block ×8, first 2 shown]
	ds_read_b128 v[74:77], v139
	ds_read_b128 v[78:81], v71 offset:1088
	ds_read_b128 v[82:85], v71 offset:2176
	ds_read_b128 v[86:89], v71 offset:3264
	ds_read_b128 v[90:93], v71 offset:4352
	ds_read_b128 v[94:97], v71 offset:5440
	s_waitcnt vmcnt(7) lgkmcnt(13)
	v_mul_f64 v[1:2], v[37:38], v[5:6]
	v_mul_f64 v[5:6], v[35:36], v[5:6]
	s_waitcnt vmcnt(6) lgkmcnt(12)
	v_mul_f64 v[98:99], v[41:42], v[9:10]
	v_mul_f64 v[9:10], v[39:40], v[9:10]
	;; [unrolled: 3-line block ×8, first 2 shown]
	v_fma_f64 v[35:36], v[35:36], v[3:4], -v[1:2]
	v_fma_f64 v[37:38], v[37:38], v[3:4], v[5:6]
	v_fma_f64 v[39:40], v[39:40], v[7:8], -v[98:99]
	v_fma_f64 v[41:42], v[41:42], v[7:8], v[9:10]
	v_fma_f64 v[43:44], v[43:44], v[11:12], -v[100:101]
	v_fma_f64 v[45:46], v[45:46], v[11:12], v[13:14]
	v_fma_f64 v[47:48], v[47:48], v[15:16], -v[102:103]
	v_fma_f64 v[49:50], v[49:50], v[15:16], v[17:18]
	v_fma_f64 v[51:52], v[51:52], v[19:20], -v[104:105]
	v_fma_f64 v[53:54], v[53:54], v[19:20], v[21:22]
	v_fma_f64 v[55:56], v[55:56], v[23:24], -v[106:107]
	v_fma_f64 v[57:58], v[57:58], v[23:24], v[25:26]
	v_fma_f64 v[59:60], v[59:60], v[27:28], -v[108:109]
	v_fma_f64 v[61:62], v[61:62], v[27:28], v[29:30]
	v_fma_f64 v[63:64], v[63:64], v[31:32], -v[110:111]
	v_fma_f64 v[65:66], v[65:66], v[31:32], v[33:34]
	ds_read_b128 v[1:4], v71 offset:6528
	ds_read_b128 v[5:8], v71 offset:7616
	s_waitcnt lgkmcnt(0)
	s_barrier
	buffer_gl0_inv
	v_add_f64 v[9:10], v[74:75], -v[35:36]
	v_add_f64 v[11:12], v[76:77], -v[37:38]
	;; [unrolled: 1-line block ×16, first 2 shown]
	v_fma_f64 v[41:42], v[74:75], 2.0, -v[9:10]
	v_fma_f64 v[43:44], v[76:77], 2.0, -v[11:12]
	;; [unrolled: 1-line block ×16, first 2 shown]
	ds_write_b128 v71, v[9:12] offset:8704
	ds_write_b128 v0, v[13:16] offset:9792
	;; [unrolled: 1-line block ×8, first 2 shown]
	ds_write_b128 v71, v[41:44]
	ds_write_b128 v71, v[45:48] offset:1088
	ds_write_b128 v71, v[49:52] offset:2176
	;; [unrolled: 1-line block ×7, first 2 shown]
	s_waitcnt lgkmcnt(0)
	s_barrier
	buffer_gl0_inv
	s_and_saveexec_b32 s0, vcc_lo
	s_cbranch_execz .LBB0_22
; %bb.21:
	v_mul_lo_u32 v2, s3, v72
	v_mul_lo_u32 v3, s2, v73
	v_mad_u64_u32 v[0:1], null, s2, v72, 0
	v_lshl_add_u32 v30, v70, 4, v138
	v_mov_b32_e32 v71, 0
	v_lshlrev_b64 v[8:9], 4, v[68:69]
	v_add_nc_u32_e32 v10, 0x44, v70
	v_add_nc_u32_e32 v16, 0x88, v70
	v_add_nc_u32_e32 v18, 0xcc, v70
	v_add3_u32 v1, v1, v3, v2
	v_lshlrev_b64 v[14:15], 4, v[70:71]
	v_mov_b32_e32 v11, v71
	v_mov_b32_e32 v17, v71
	;; [unrolled: 1-line block ×3, first 2 shown]
	v_lshlrev_b64 v[12:13], 4, v[0:1]
	ds_read_b128 v[0:3], v30
	ds_read_b128 v[4:7], v30 offset:1088
	v_lshlrev_b64 v[22:23], 4, v[10:11]
	v_lshlrev_b64 v[16:17], 4, v[16:17]
	;; [unrolled: 1-line block ×3, first 2 shown]
	v_add_nc_u32_e32 v24, 0x110, v70
	v_add_co_u32 v12, vcc_lo, s10, v12
	v_add_co_ci_u32_e32 v13, vcc_lo, s11, v13, vcc_lo
	v_mov_b32_e32 v25, v71
	v_add_co_u32 v31, vcc_lo, v12, v8
	v_add_co_ci_u32_e32 v32, vcc_lo, v13, v9, vcc_lo
	v_add_nc_u32_e32 v28, 0x154, v70
	v_add_co_u32 v20, vcc_lo, v31, v14
	v_add_co_ci_u32_e32 v21, vcc_lo, v32, v15, vcc_lo
	ds_read_b128 v[8:11], v30 offset:2176
	ds_read_b128 v[12:15], v30 offset:3264
	v_mov_b32_e32 v29, v71
	v_lshlrev_b64 v[24:25], 4, v[24:25]
	s_waitcnt lgkmcnt(3)
	global_store_dwordx4 v[20:21], v[0:3], off
	v_add_co_u32 v20, vcc_lo, v31, v22
	v_add_co_ci_u32_e32 v21, vcc_lo, v32, v23, vcc_lo
	v_add_co_u32 v22, vcc_lo, v31, v16
	v_add_co_ci_u32_e32 v23, vcc_lo, v32, v17, vcc_lo
	v_add_co_u32 v26, vcc_lo, v31, v18
	ds_read_b128 v[0:3], v30 offset:4352
	v_add_co_ci_u32_e32 v27, vcc_lo, v32, v19, vcc_lo
	ds_read_b128 v[16:19], v30 offset:5440
	s_waitcnt lgkmcnt(4)
	global_store_dwordx4 v[20:21], v[4:7], off
	s_waitcnt lgkmcnt(3)
	global_store_dwordx4 v[22:23], v[8:11], off
	;; [unrolled: 2-line block ×3, first 2 shown]
	v_lshlrev_b64 v[4:5], 4, v[28:29]
	v_add_co_u32 v6, vcc_lo, v31, v24
	v_add_co_ci_u32_e32 v7, vcc_lo, v32, v25, vcc_lo
	v_add_nc_u32_e32 v8, 0x198, v70
	v_add_co_u32 v4, vcc_lo, v31, v4
	v_add_co_ci_u32_e32 v5, vcc_lo, v32, v5, vcc_lo
	v_mov_b32_e32 v9, v71
	v_add_nc_u32_e32 v10, 0x1dc, v70
	v_mov_b32_e32 v11, v71
	s_waitcnt lgkmcnt(1)
	global_store_dwordx4 v[6:7], v[0:3], off
	v_add_nc_u32_e32 v28, 0x2a8, v70
	v_lshlrev_b64 v[12:13], 4, v[8:9]
	s_waitcnt lgkmcnt(0)
	global_store_dwordx4 v[4:5], v[16:19], off
	ds_read_b128 v[0:3], v30 offset:6528
	ds_read_b128 v[4:7], v30 offset:7616
	v_lshlrev_b64 v[14:15], 4, v[10:11]
	ds_read_b128 v[8:11], v30 offset:8704
	v_add_nc_u32_e32 v16, 0x220, v70
	v_mov_b32_e32 v17, v71
	v_add_co_u32 v20, vcc_lo, v31, v12
	v_add_co_ci_u32_e32 v21, vcc_lo, v32, v13, vcc_lo
	v_lshlrev_b64 v[12:13], 4, v[16:17]
	v_add_nc_u32_e32 v16, 0x264, v70
	v_add_co_u32 v22, vcc_lo, v31, v14
	v_add_co_ci_u32_e32 v23, vcc_lo, v32, v15, vcc_lo
	v_lshlrev_b64 v[26:27], 4, v[16:17]
	ds_read_b128 v[16:19], v30 offset:10880
	v_add_co_u32 v24, vcc_lo, v31, v12
	v_add_co_ci_u32_e32 v25, vcc_lo, v32, v13, vcc_lo
	ds_read_b128 v[12:15], v30 offset:9792
	s_waitcnt lgkmcnt(4)
	global_store_dwordx4 v[20:21], v[0:3], off
	s_waitcnt lgkmcnt(3)
	global_store_dwordx4 v[22:23], v[4:7], off
	;; [unrolled: 2-line block ×3, first 2 shown]
	v_lshlrev_b64 v[0:1], 4, v[28:29]
	v_add_co_u32 v2, vcc_lo, v31, v26
	v_add_co_ci_u32_e32 v3, vcc_lo, v32, v27, vcc_lo
	v_add_nc_u32_e32 v4, 0x2ec, v70
	v_mov_b32_e32 v5, v71
	v_add_co_u32 v6, vcc_lo, v31, v0
	v_add_co_ci_u32_e32 v7, vcc_lo, v32, v1, vcc_lo
	v_add_nc_u32_e32 v8, 0x330, v70
	v_mov_b32_e32 v9, v71
	v_lshlrev_b64 v[4:5], 4, v[4:5]
	s_waitcnt lgkmcnt(1)
	global_store_dwordx4 v[6:7], v[16:19], off
	v_add_nc_u32_e32 v24, 0x3b8, v70
	v_mov_b32_e32 v25, v71
	v_lshlrev_b64 v[6:7], 4, v[8:9]
	s_waitcnt lgkmcnt(0)
	global_store_dwordx4 v[2:3], v[12:15], off
	v_add_co_u32 v20, vcc_lo, v31, v4
	v_add_nc_u32_e32 v12, 0x374, v70
	v_mov_b32_e32 v13, v71
	v_add_co_ci_u32_e32 v21, vcc_lo, v32, v5, vcc_lo
	v_add_co_u32 v22, vcc_lo, v31, v6
	ds_read_b128 v[0:3], v30 offset:11968
	v_add_co_ci_u32_e32 v23, vcc_lo, v32, v7, vcc_lo
	ds_read_b128 v[4:7], v30 offset:13056
	ds_read_b128 v[8:11], v30 offset:14144
	v_lshlrev_b64 v[26:27], 4, v[12:13]
	ds_read_b128 v[12:15], v30 offset:15232
	ds_read_b128 v[16:19], v30 offset:16320
	v_add_nc_u32_e32 v70, 0x3fc, v70
	v_lshlrev_b64 v[24:25], 4, v[24:25]
	v_add_co_u32 v26, vcc_lo, v31, v26
	v_lshlrev_b64 v[28:29], 4, v[70:71]
	v_add_co_ci_u32_e32 v27, vcc_lo, v32, v27, vcc_lo
	v_add_co_u32 v24, vcc_lo, v31, v24
	v_add_co_ci_u32_e32 v25, vcc_lo, v32, v25, vcc_lo
	v_add_co_u32 v28, vcc_lo, v31, v28
	v_add_co_ci_u32_e32 v29, vcc_lo, v32, v29, vcc_lo
	s_waitcnt lgkmcnt(4)
	global_store_dwordx4 v[20:21], v[0:3], off
	s_waitcnt lgkmcnt(3)
	global_store_dwordx4 v[22:23], v[4:7], off
	;; [unrolled: 2-line block ×5, first 2 shown]
.LBB0_22:
	s_endpgm
	.section	.rodata,"a",@progbits
	.p2align	6, 0x0
	.amdhsa_kernel fft_rtc_fwd_len1088_factors_17_4_4_2_2_wgs_204_tpt_68_halfLds_dp_op_CI_CI_unitstride_sbrr_C2R_dirReg
		.amdhsa_group_segment_fixed_size 0
		.amdhsa_private_segment_fixed_size 0
		.amdhsa_kernarg_size 104
		.amdhsa_user_sgpr_count 6
		.amdhsa_user_sgpr_private_segment_buffer 1
		.amdhsa_user_sgpr_dispatch_ptr 0
		.amdhsa_user_sgpr_queue_ptr 0
		.amdhsa_user_sgpr_kernarg_segment_ptr 1
		.amdhsa_user_sgpr_dispatch_id 0
		.amdhsa_user_sgpr_flat_scratch_init 0
		.amdhsa_user_sgpr_private_segment_size 0
		.amdhsa_wavefront_size32 1
		.amdhsa_uses_dynamic_stack 0
		.amdhsa_system_sgpr_private_segment_wavefront_offset 0
		.amdhsa_system_sgpr_workgroup_id_x 1
		.amdhsa_system_sgpr_workgroup_id_y 0
		.amdhsa_system_sgpr_workgroup_id_z 0
		.amdhsa_system_sgpr_workgroup_info 0
		.amdhsa_system_vgpr_workitem_id 0
		.amdhsa_next_free_vgpr 172
		.amdhsa_next_free_sgpr 56
		.amdhsa_reserve_vcc 1
		.amdhsa_reserve_flat_scratch 0
		.amdhsa_float_round_mode_32 0
		.amdhsa_float_round_mode_16_64 0
		.amdhsa_float_denorm_mode_32 3
		.amdhsa_float_denorm_mode_16_64 3
		.amdhsa_dx10_clamp 1
		.amdhsa_ieee_mode 1
		.amdhsa_fp16_overflow 0
		.amdhsa_workgroup_processor_mode 1
		.amdhsa_memory_ordered 1
		.amdhsa_forward_progress 0
		.amdhsa_shared_vgpr_count 0
		.amdhsa_exception_fp_ieee_invalid_op 0
		.amdhsa_exception_fp_denorm_src 0
		.amdhsa_exception_fp_ieee_div_zero 0
		.amdhsa_exception_fp_ieee_overflow 0
		.amdhsa_exception_fp_ieee_underflow 0
		.amdhsa_exception_fp_ieee_inexact 0
		.amdhsa_exception_int_div_zero 0
	.end_amdhsa_kernel
	.text
.Lfunc_end0:
	.size	fft_rtc_fwd_len1088_factors_17_4_4_2_2_wgs_204_tpt_68_halfLds_dp_op_CI_CI_unitstride_sbrr_C2R_dirReg, .Lfunc_end0-fft_rtc_fwd_len1088_factors_17_4_4_2_2_wgs_204_tpt_68_halfLds_dp_op_CI_CI_unitstride_sbrr_C2R_dirReg
                                        ; -- End function
	.section	.AMDGPU.csdata,"",@progbits
; Kernel info:
; codeLenInByte = 15712
; NumSgprs: 58
; NumVgprs: 172
; ScratchSize: 0
; MemoryBound: 0
; FloatMode: 240
; IeeeMode: 1
; LDSByteSize: 0 bytes/workgroup (compile time only)
; SGPRBlocks: 7
; VGPRBlocks: 21
; NumSGPRsForWavesPerEU: 58
; NumVGPRsForWavesPerEU: 172
; Occupancy: 5
; WaveLimiterHint : 1
; COMPUTE_PGM_RSRC2:SCRATCH_EN: 0
; COMPUTE_PGM_RSRC2:USER_SGPR: 6
; COMPUTE_PGM_RSRC2:TRAP_HANDLER: 0
; COMPUTE_PGM_RSRC2:TGID_X_EN: 1
; COMPUTE_PGM_RSRC2:TGID_Y_EN: 0
; COMPUTE_PGM_RSRC2:TGID_Z_EN: 0
; COMPUTE_PGM_RSRC2:TIDIG_COMP_CNT: 0
	.text
	.p2alignl 6, 3214868480
	.fill 48, 4, 3214868480
	.type	__hip_cuid_b58f81001b492c48,@object ; @__hip_cuid_b58f81001b492c48
	.section	.bss,"aw",@nobits
	.globl	__hip_cuid_b58f81001b492c48
__hip_cuid_b58f81001b492c48:
	.byte	0                               ; 0x0
	.size	__hip_cuid_b58f81001b492c48, 1

	.ident	"AMD clang version 19.0.0git (https://github.com/RadeonOpenCompute/llvm-project roc-6.4.0 25133 c7fe45cf4b819c5991fe208aaa96edf142730f1d)"
	.section	".note.GNU-stack","",@progbits
	.addrsig
	.addrsig_sym __hip_cuid_b58f81001b492c48
	.amdgpu_metadata
---
amdhsa.kernels:
  - .args:
      - .actual_access:  read_only
        .address_space:  global
        .offset:         0
        .size:           8
        .value_kind:     global_buffer
      - .offset:         8
        .size:           8
        .value_kind:     by_value
      - .actual_access:  read_only
        .address_space:  global
        .offset:         16
        .size:           8
        .value_kind:     global_buffer
      - .actual_access:  read_only
        .address_space:  global
        .offset:         24
        .size:           8
        .value_kind:     global_buffer
      - .actual_access:  read_only
        .address_space:  global
        .offset:         32
        .size:           8
        .value_kind:     global_buffer
      - .offset:         40
        .size:           8
        .value_kind:     by_value
      - .actual_access:  read_only
        .address_space:  global
        .offset:         48
        .size:           8
        .value_kind:     global_buffer
      - .actual_access:  read_only
        .address_space:  global
        .offset:         56
        .size:           8
        .value_kind:     global_buffer
      - .offset:         64
        .size:           4
        .value_kind:     by_value
      - .actual_access:  read_only
        .address_space:  global
        .offset:         72
        .size:           8
        .value_kind:     global_buffer
      - .actual_access:  read_only
        .address_space:  global
        .offset:         80
        .size:           8
        .value_kind:     global_buffer
      - .actual_access:  read_only
        .address_space:  global
        .offset:         88
        .size:           8
        .value_kind:     global_buffer
      - .actual_access:  write_only
        .address_space:  global
        .offset:         96
        .size:           8
        .value_kind:     global_buffer
    .group_segment_fixed_size: 0
    .kernarg_segment_align: 8
    .kernarg_segment_size: 104
    .language:       OpenCL C
    .language_version:
      - 2
      - 0
    .max_flat_workgroup_size: 204
    .name:           fft_rtc_fwd_len1088_factors_17_4_4_2_2_wgs_204_tpt_68_halfLds_dp_op_CI_CI_unitstride_sbrr_C2R_dirReg
    .private_segment_fixed_size: 0
    .sgpr_count:     58
    .sgpr_spill_count: 0
    .symbol:         fft_rtc_fwd_len1088_factors_17_4_4_2_2_wgs_204_tpt_68_halfLds_dp_op_CI_CI_unitstride_sbrr_C2R_dirReg.kd
    .uniform_work_group_size: 1
    .uses_dynamic_stack: false
    .vgpr_count:     172
    .vgpr_spill_count: 0
    .wavefront_size: 32
    .workgroup_processor_mode: 1
amdhsa.target:   amdgcn-amd-amdhsa--gfx1030
amdhsa.version:
  - 1
  - 2
...

	.end_amdgpu_metadata
